;; amdgpu-corpus repo=ROCm/rocFFT kind=compiled arch=gfx1201 opt=O3
	.text
	.amdgcn_target "amdgcn-amd-amdhsa--gfx1201"
	.amdhsa_code_object_version 6
	.protected	bluestein_single_fwd_len1904_dim1_dp_op_CI_CI ; -- Begin function bluestein_single_fwd_len1904_dim1_dp_op_CI_CI
	.globl	bluestein_single_fwd_len1904_dim1_dp_op_CI_CI
	.p2align	8
	.type	bluestein_single_fwd_len1904_dim1_dp_op_CI_CI,@function
bluestein_single_fwd_len1904_dim1_dp_op_CI_CI: ; @bluestein_single_fwd_len1904_dim1_dp_op_CI_CI
; %bb.0:
	s_load_b128 s[8:11], s[0:1], 0x28
	v_mul_u32_u24_e32 v1, 0x227, v0
	s_mov_b32 s2, exec_lo
	v_mov_b32_e32 v4, 0
	s_delay_alu instid0(VALU_DEP_2) | instskip(NEXT) | instid1(VALU_DEP_1)
	v_lshrrev_b32_e32 v1, 16, v1
	v_add_nc_u32_e32 v3, ttmp9, v1
	s_delay_alu instid0(VALU_DEP_1)
	v_mov_b32_e32 v2, v3
	scratch_store_b64 off, v[2:3], off      ; 8-byte Folded Spill
	s_wait_kmcnt 0x0
	v_cmpx_gt_u64_e64 s[8:9], v[3:4]
	s_cbranch_execz .LBB0_23
; %bb.1:
	v_mul_lo_u16 v1, 0x77, v1
	s_clause 0x1
	s_load_b64 s[8:9], s[0:1], 0x0
	s_load_b64 s[12:13], s[0:1], 0x38
	s_delay_alu instid0(VALU_DEP_1) | instskip(NEXT) | instid1(VALU_DEP_1)
	v_sub_nc_u16 v0, v0, v1
	v_and_b32_e32 v246, 0xffff, v0
	v_cmp_gt_u16_e32 vcc_lo, 0x70, v0
	s_delay_alu instid0(VALU_DEP_2)
	v_or_b32_e32 v0, 0x380, v246
	v_lshlrev_b32_e32 v108, 4, v246
	scratch_store_b32 off, v0, off offset:560 ; 4-byte Folded Spill
	v_or_b32_e32 v0, 0x700, v246
	scratch_store_b32 off, v0, off offset:556 ; 4-byte Folded Spill
	s_and_saveexec_b32 s3, vcc_lo
	s_cbranch_execz .LBB0_3
; %bb.2:
	scratch_load_b64 v[0:1], off, off       ; 8-byte Folded Reload
	s_load_b64 s[4:5], s[0:1], 0x18
	v_or_b32_e32 v44, 0x700, v246
	s_wait_kmcnt 0x0
	s_load_b128 s[4:7], s[4:5], 0x0
	s_wait_kmcnt 0x0
	v_mad_co_u64_u32 v[40:41], null, s4, v246, 0
	v_mad_co_u64_u32 v[56:57], null, s4, v44, 0
	s_wait_loadcnt 0x0
	s_delay_alu instid0(VALU_DEP_2) | instskip(NEXT) | instid1(VALU_DEP_1)
	v_dual_mov_b32 v1, v41 :: v_dual_mov_b32 v2, v0
	v_mad_co_u64_u32 v[24:25], null, s6, v2, 0
	s_delay_alu instid0(VALU_DEP_2) | instskip(NEXT) | instid1(VALU_DEP_2)
	v_mad_co_u64_u32 v[26:27], null, s5, v246, v[1:2]
	v_mov_b32_e32 v0, v25
	s_delay_alu instid0(VALU_DEP_1)
	v_mad_co_u64_u32 v[8:9], null, s7, v2, v[0:1]
	s_mul_u64 s[6:7], s[4:5], 0x700
	s_clause 0x1
	global_load_b128 v[0:3], v108, s[8:9]
	global_load_b128 v[4:7], v108, s[8:9] offset:1792
	v_mov_b32_e32 v25, v8
	s_clause 0x3
	global_load_b128 v[8:11], v108, s[8:9] offset:3584
	global_load_b128 v[12:15], v108, s[8:9] offset:5376
	;; [unrolled: 1-line block ×4, first 2 shown]
	v_lshlrev_b64_e32 v[42:43], 4, v[24:25]
	s_delay_alu instid0(VALU_DEP_1) | instskip(SKIP_1) | instid1(VALU_DEP_3)
	v_add_co_u32 v62, s2, s10, v42
	v_or_b32_e32 v42, 0x380, v246
	v_add_co_ci_u32_e64 v63, s2, s11, v43, s2
	s_delay_alu instid0(VALU_DEP_2)
	v_mad_co_u64_u32 v[48:49], null, s4, v42, 0
	v_mov_b32_e32 v41, v26
	s_clause 0x3
	global_load_b128 v[24:27], v108, s[8:9] offset:10752
	global_load_b128 v[28:31], v108, s[8:9] offset:12544
	;; [unrolled: 1-line block ×4, first 2 shown]
	v_lshlrev_b64_e32 v[40:41], 4, v[40:41]
	s_delay_alu instid0(VALU_DEP_1) | instskip(SKIP_2) | instid1(VALU_DEP_3)
	v_add_co_u32 v68, s2, v62, v40
	v_mov_b32_e32 v40, v49
	s_wait_alu 0xf1ff
	v_add_co_ci_u32_e64 v69, s2, v63, v41, s2
	s_wait_alu 0xfffe
	v_add_co_u32 v72, s2, v68, s6
	s_wait_alu 0xf1ff
	s_delay_alu instid0(VALU_DEP_2) | instskip(NEXT) | instid1(VALU_DEP_2)
	v_add_co_ci_u32_e64 v73, s2, s7, v69, s2
	v_add_co_u32 v76, s2, v72, s6
	s_wait_alu 0xf1ff
	s_delay_alu instid0(VALU_DEP_2) | instskip(NEXT) | instid1(VALU_DEP_2)
	v_add_co_ci_u32_e64 v77, s2, s7, v73, s2
	v_add_co_u32 v80, s2, v76, s6
	s_wait_alu 0xf1ff
	s_delay_alu instid0(VALU_DEP_2) | instskip(NEXT) | instid1(VALU_DEP_2)
	v_add_co_ci_u32_e64 v81, s2, s7, v77, s2
	v_add_co_u32 v84, s2, v80, s6
	s_wait_alu 0xf1ff
	s_delay_alu instid0(VALU_DEP_2) | instskip(NEXT) | instid1(VALU_DEP_2)
	v_add_co_ci_u32_e64 v85, s2, s7, v81, s2
	v_add_co_u32 v88, s2, v84, s6
	s_wait_alu 0xf1ff
	s_delay_alu instid0(VALU_DEP_2) | instskip(NEXT) | instid1(VALU_DEP_2)
	v_add_co_ci_u32_e64 v89, s2, s7, v85, s2
	v_add_co_u32 v92, s2, v88, s6
	s_wait_alu 0xf1ff
	s_delay_alu instid0(VALU_DEP_2) | instskip(NEXT) | instid1(VALU_DEP_2)
	v_add_co_ci_u32_e64 v93, s2, s7, v89, s2
	v_add_co_u32 v96, s2, v92, s6
	s_wait_alu 0xf1ff
	s_delay_alu instid0(VALU_DEP_2) | instskip(NEXT) | instid1(VALU_DEP_1)
	v_add_co_ci_u32_e64 v97, s2, s7, v93, s2
	v_mad_co_u64_u32 v[100:101], null, 0xe00, s4, v[96:97]
	s_delay_alu instid0(VALU_DEP_1) | instskip(NEXT) | instid1(VALU_DEP_1)
	v_dual_mov_b32 v41, v57 :: v_dual_mov_b32 v64, v101
	v_mad_co_u64_u32 v[42:43], null, s5, v42, v[40:41]
	s_delay_alu instid0(VALU_DEP_1)
	v_mad_co_u64_u32 v[50:51], null, s5, v44, v[41:42]
	v_mov_b32_e32 v49, v42
	s_clause 0x1
	global_load_b128 v[40:43], v108, s[8:9] offset:17920
	global_load_b128 v[44:47], v108, s[8:9] offset:19712
	v_lshlrev_b64_e32 v[58:59], 4, v[48:49]
	v_mov_b32_e32 v57, v50
	s_clause 0x1
	global_load_b128 v[48:51], v108, s[8:9] offset:21504
	global_load_b128 v[52:55], v108, s[8:9] offset:23296
	v_lshlrev_b64_e32 v[56:57], 4, v[56:57]
	v_add_co_u32 v60, s2, v62, v58
	s_wait_alu 0xf1ff
	v_add_co_ci_u32_e64 v61, s2, v63, v59, s2
	s_delay_alu instid0(VALU_DEP_3) | instskip(SKIP_3) | instid1(VALU_DEP_3)
	v_add_co_u32 v65, s2, v62, v56
	s_wait_alu 0xf1ff
	v_add_co_ci_u32_e64 v66, s2, v63, v57, s2
	v_add_co_u32 v104, s2, v100, s6
	v_mad_co_u64_u32 v[94:95], null, 0xe00, s5, v[64:65]
	global_load_b128 v[56:59], v108, s[8:9] offset:28672
	s_clause 0x6
	global_load_b128 v[60:63], v[60:61], off
	global_load_b128 v[64:67], v[65:66], off
	global_load_b128 v[68:71], v[68:69], off
	global_load_b128 v[72:75], v[72:73], off
	global_load_b128 v[76:79], v[76:77], off
	global_load_b128 v[80:83], v[80:81], off
	global_load_b128 v[84:87], v[84:85], off
	global_load_b128 v[88:91], v[88:89], off
	global_load_b128 v[96:99], v[96:97], off
	v_mov_b32_e32 v101, v94
	global_load_b128 v[92:95], v[92:93], off
	s_wait_alu 0xf1ff
	v_add_co_ci_u32_e64 v105, s2, s7, v101, s2
	v_add_co_u32 v109, s2, v104, s6
	global_load_b128 v[100:103], v[100:101], off
	s_wait_alu 0xf1ff
	v_add_co_ci_u32_e64 v110, s2, s7, v105, s2
	v_add_co_u32 v113, s2, v109, s6
	;; [unrolled: 4-line block ×5, first 2 shown]
	s_wait_alu 0xf1ff
	s_delay_alu instid0(VALU_DEP_2)
	v_add_co_ci_u32_e64 v134, s2, s7, v122, s2
	global_load_b128 v[117:120], v[117:118], off
	global_load_b128 v[121:124], v[121:122], off
	s_clause 0x1
	global_load_b128 v[125:128], v108, s[8:9] offset:25088
	global_load_b128 v[129:132], v108, s[8:9] offset:26880
	global_load_b128 v[133:136], v[133:134], off
	s_wait_loadcnt 0x10
	v_mul_f64_e32 v[137:138], v[70:71], v[2:3]
	v_mul_f64_e32 v[2:3], v[68:69], v[2:3]
	s_wait_loadcnt 0xf
	v_mul_f64_e32 v[143:144], v[74:75], v[6:7]
	v_mul_f64_e32 v[145:146], v[72:73], v[6:7]
	;; [unrolled: 1-line block ×4, first 2 shown]
	s_wait_loadcnt 0xe
	v_mul_f64_e32 v[147:148], v[78:79], v[10:11]
	v_mul_f64_e32 v[10:11], v[76:77], v[10:11]
	s_wait_loadcnt 0xd
	v_mul_f64_e32 v[149:150], v[82:83], v[14:15]
	v_mul_f64_e32 v[14:15], v[80:81], v[14:15]
	;; [unrolled: 3-line block ×5, first 2 shown]
	v_mul_f64_e32 v[157:158], v[98:99], v[30:31]
	v_mul_f64_e32 v[159:160], v[96:97], v[30:31]
	;; [unrolled: 1-line block ×3, first 2 shown]
	s_wait_loadcnt 0x8
	v_mul_f64_e32 v[161:162], v[102:103], v[38:39]
	v_mul_f64_e32 v[38:39], v[100:101], v[38:39]
	;; [unrolled: 1-line block ×3, first 2 shown]
	s_wait_loadcnt 0x7
	v_mul_f64_e32 v[163:164], v[106:107], v[42:43]
	v_mul_f64_e32 v[42:43], v[104:105], v[42:43]
	s_wait_loadcnt 0x6
	v_mul_f64_e32 v[165:166], v[111:112], v[46:47]
	v_mul_f64_e32 v[46:47], v[109:110], v[46:47]
	;; [unrolled: 3-line block ×6, first 2 shown]
	v_fma_f64 v[68:69], v[68:69], v[0:1], v[137:138]
	v_fma_f64 v[70:71], v[70:71], v[0:1], -v[2:3]
	v_fma_f64 v[0:1], v[60:61], v[32:33], v[139:140]
	v_fma_f64 v[2:3], v[62:63], v[32:33], -v[34:35]
	;; [unrolled: 2-line block ×11, first 2 shown]
	v_fma_f64 v[6:7], v[64:65], v[56:57], v[141:142]
	v_fma_f64 v[42:43], v[109:110], v[44:45], v[165:166]
	v_fma_f64 v[44:45], v[111:112], v[44:45], -v[46:47]
	v_fma_f64 v[8:9], v[66:67], v[56:57], -v[175:176]
	v_fma_f64 v[46:47], v[113:114], v[48:49], v[167:168]
	v_fma_f64 v[48:49], v[115:116], v[48:49], -v[50:51]
	v_fma_f64 v[50:51], v[117:118], v[52:53], v[169:170]
	;; [unrolled: 2-line block ×4, first 2 shown]
	v_fma_f64 v[74:75], v[135:136], v[129:130], -v[131:132]
	ds_store_b128 v108, v[68:71]
	ds_store_b128 v108, v[30:33] offset:1792
	ds_store_b128 v108, v[58:61] offset:3584
	;; [unrolled: 1-line block ×16, first 2 shown]
.LBB0_3:
	s_or_b32 exec_lo, exec_lo, s3
	s_clause 0x1
	s_load_b64 s[4:5], s[0:1], 0x20
	s_load_b64 s[2:3], s[0:1], 0x8
	global_wb scope:SCOPE_SE
	s_wait_storecnt_dscnt 0x0
	s_wait_kmcnt 0x0
	s_barrier_signal -1
	s_barrier_wait -1
	global_inv scope:SCOPE_SE
                                        ; implicit-def: $vgpr0_vgpr1
                                        ; implicit-def: $vgpr60_vgpr61
                                        ; implicit-def: $vgpr56_vgpr57
                                        ; implicit-def: $vgpr44_vgpr45
                                        ; implicit-def: $vgpr40_vgpr41
                                        ; implicit-def: $vgpr24_vgpr25
                                        ; implicit-def: $vgpr20_vgpr21
                                        ; implicit-def: $vgpr8_vgpr9
                                        ; implicit-def: $vgpr4_vgpr5
                                        ; implicit-def: $vgpr12_vgpr13
                                        ; implicit-def: $vgpr16_vgpr17
                                        ; implicit-def: $vgpr28_vgpr29
                                        ; implicit-def: $vgpr36_vgpr37
                                        ; implicit-def: $vgpr48_vgpr49
                                        ; implicit-def: $vgpr52_vgpr53
                                        ; implicit-def: $vgpr64_vgpr65
                                        ; implicit-def: $vgpr68_vgpr69
	s_and_saveexec_b32 s0, vcc_lo
	s_cbranch_execz .LBB0_5
; %bb.4:
	ds_load_b128 v[0:3], v108
	ds_load_b128 v[68:71], v108 offset:1792
	ds_load_b128 v[64:67], v108 offset:3584
	;; [unrolled: 1-line block ×16, first 2 shown]
.LBB0_5:
	s_wait_alu 0xfffe
	s_or_b32 exec_lo, exec_lo, s0
	s_wait_dscnt 0x0
	v_add_f64_e64 v[158:159], v[70:71], -v[6:7]
	v_add_f64_e64 v[162:163], v[68:69], -v[4:5]
	s_mov_b32 s0, 0x5d8e7cdc
	s_mov_b32 s1, 0xbfd71e95
	v_add_f64_e32 v[152:153], v[4:5], v[68:69]
	v_add_f64_e32 v[164:165], v[6:7], v[70:71]
	v_add_f64_e64 v[98:99], v[66:67], -v[10:11]
	v_add_f64_e64 v[72:73], v[64:65], -v[8:9]
	s_mov_b32 s6, 0x370991
	s_mov_b32 s14, 0x2a9d6da3
	s_mov_b32 s7, 0x3fedd6d0
	s_mov_b32 s15, 0xbfe58eea
	v_add_f64_e32 v[74:75], v[8:9], v[64:65]
	v_add_f64_e32 v[102:103], v[10:11], v[66:67]
	v_add_f64_e64 v[104:105], v[62:63], -v[14:15]
	v_add_f64_e64 v[76:77], v[60:61], -v[12:13]
	s_mov_b32 s18, 0x75d4884
	s_mov_b32 s10, 0x7c9e640b
	;; [unrolled: 8-line block ×4, first 2 shown]
	s_mov_b32 s23, 0x3fb79ee6
	s_mov_b32 s21, 0xbfeec746
	v_add_f64_e32 v[114:115], v[22:23], v[54:55]
	v_add_f64_e64 v[116:117], v[50:51], -v[26:27]
	s_wait_alu 0xfffe
	v_mul_f64_e32 v[160:161], s[0:1], v[158:159]
	v_mul_f64_e32 v[166:167], s[0:1], v[162:163]
	s_mov_b32 s24, 0xc61f0d01
	s_mov_b32 s34, 0x6c9a05f6
	;; [unrolled: 1-line block ×4, first 2 shown]
	v_mul_f64_e32 v[128:129], s[14:15], v[98:99]
	v_mul_f64_e32 v[130:131], s[14:15], v[72:73]
	v_add_f64_e32 v[118:119], v[26:27], v[50:51]
	v_add_f64_e64 v[120:121], v[46:47], -v[30:31]
	s_mov_b32 s30, 0x6ed5f1bb
	s_mov_b32 s28, 0x4363dd80
	s_mov_b32 s31, 0xbfe348c8
	s_mov_b32 s29, 0xbfe0d888
	v_mul_f64_e32 v[132:133], s[10:11], v[104:105]
	v_mul_f64_e32 v[134:135], s[10:11], v[76:77]
	v_add_f64_e32 v[122:123], v[46:47], v[30:31]
	v_add_f64_e64 v[124:125], v[42:43], -v[38:39]
	s_mov_b32 s36, 0x910ea3b9
	s_mov_b32 s40, 0xacd6c6b4
	;; [unrolled: 1-line block ×4, first 2 shown]
	v_mul_f64_e32 v[138:139], s[26:27], v[80:81]
	v_mul_f64_e32 v[136:137], s[26:27], v[168:169]
	s_mov_b32 s38, 0x7faef3
	s_mov_b32 s39, 0xbfef7484
	global_wb scope:SCOPE_SE
	s_barrier_signal -1
	s_barrier_wait -1
	global_inv scope:SCOPE_SE
	v_mul_f64_e32 v[142:143], s[20:21], v[84:85]
	v_mul_f64_e32 v[140:141], s[20:21], v[112:113]
	;; [unrolled: 1-line block ×3, first 2 shown]
	v_fma_f64 v[32:33], v[152:153], s[6:7], v[160:161]
	v_fma_f64 v[34:35], v[164:165], s[6:7], -v[166:167]
	v_fma_f64 v[86:87], v[74:75], s[18:19], v[128:129]
	v_fma_f64 v[88:89], v[102:103], s[18:19], -v[130:131]
	v_mul_f64_e32 v[148:149], s[28:29], v[120:121]
	v_fma_f64 v[90:91], v[78:79], s[16:17], v[132:133]
	v_fma_f64 v[92:93], v[106:107], s[16:17], -v[134:135]
	v_mul_f64_e32 v[154:155], s[40:41], v[124:125]
	v_fma_f64 v[96:97], v[110:111], s[22:23], -v[138:139]
	v_fma_f64 v[94:95], v[82:83], s[22:23], v[136:137]
	v_fma_f64 v[126:127], v[114:115], s[24:25], -v[142:143]
	v_add_f64_e32 v[32:33], v[0:1], v[32:33]
	v_add_f64_e32 v[34:35], v[2:3], v[34:35]
	s_delay_alu instid0(VALU_DEP_2) | instskip(NEXT) | instid1(VALU_DEP_2)
	v_add_f64_e32 v[32:33], v[86:87], v[32:33]
	v_add_f64_e32 v[34:35], v[88:89], v[34:35]
	;; [unrolled: 1-line block ×3, first 2 shown]
	v_add_f64_e64 v[88:89], v[48:49], -v[24:25]
	s_delay_alu instid0(VALU_DEP_4) | instskip(NEXT) | instid1(VALU_DEP_4)
	v_add_f64_e32 v[32:33], v[90:91], v[32:33]
	v_add_f64_e32 v[34:35], v[92:93], v[34:35]
	;; [unrolled: 1-line block ×3, first 2 shown]
	v_add_f64_e64 v[92:93], v[44:45], -v[28:29]
	v_mul_f64_e32 v[146:147], s[34:35], v[88:89]
	v_fma_f64 v[100:101], v[86:87], s[24:25], v[140:141]
	v_add_f64_e32 v[32:33], v[94:95], v[32:33]
	v_add_f64_e32 v[34:35], v[96:97], v[34:35]
	;; [unrolled: 1-line block ×3, first 2 shown]
	v_add_f64_e64 v[96:97], v[40:41], -v[36:37]
	v_mul_f64_e32 v[150:151], s[28:29], v[92:93]
	v_fma_f64 v[170:171], v[90:91], s[30:31], v[144:145]
	v_fma_f64 v[172:173], v[118:119], s[30:31], -v[146:147]
	v_add_f64_e32 v[32:33], v[100:101], v[32:33]
	v_add_f64_e32 v[34:35], v[126:127], v[34:35]
	;; [unrolled: 1-line block ×4, first 2 shown]
	v_mul_f64_e32 v[156:157], s[40:41], v[96:97]
	v_fma_f64 v[174:175], v[94:95], s[36:37], v[148:149]
	v_fma_f64 v[176:177], v[122:123], s[36:37], -v[150:151]
	v_add_f64_e32 v[32:33], v[170:171], v[32:33]
	v_add_f64_e32 v[34:35], v[172:173], v[34:35]
	v_fma_f64 v[170:171], v[100:101], s[38:39], v[154:155]
	v_fma_f64 v[172:173], v[126:127], s[38:39], -v[156:157]
	s_delay_alu instid0(VALU_DEP_4) | instskip(NEXT) | instid1(VALU_DEP_4)
	v_add_f64_e32 v[32:33], v[174:175], v[32:33]
	v_add_f64_e32 v[34:35], v[176:177], v[34:35]
	s_delay_alu instid0(VALU_DEP_2) | instskip(NEXT) | instid1(VALU_DEP_2)
	v_add_f64_e32 v[32:33], v[170:171], v[32:33]
	v_add_f64_e32 v[34:35], v[172:173], v[34:35]
	s_and_saveexec_b32 s33, vcc_lo
	s_cbranch_execz .LBB0_7
; %bb.6:
	v_add_f64_e32 v[68:69], v[0:1], v[68:69]
	v_add_f64_e32 v[70:71], v[2:3], v[70:71]
	s_mov_b32 s45, 0x3fe9895b
	s_mov_b32 s44, s34
	;; [unrolled: 1-line block ×16, first 2 shown]
	v_mul_f64_e32 v[180:181], s[22:23], v[126:127]
	v_mul_f64_e32 v[182:183], s[48:49], v[124:125]
	;; [unrolled: 1-line block ×20, first 2 shown]
	v_add_f64_e32 v[64:65], v[64:65], v[68:69]
	v_add_f64_e32 v[66:67], v[66:67], v[70:71]
	v_mul_f64_e32 v[70:71], s[6:7], v[152:153]
	v_mul_f64_e32 v[220:221], s[54:55], v[124:125]
	;; [unrolled: 1-line block ×14, first 2 shown]
	v_add_f64_e32 v[60:61], v[60:61], v[64:65]
	v_add_f64_e32 v[62:63], v[62:63], v[66:67]
	v_add_f64_e64 v[70:71], v[70:71], -v[160:161]
	s_delay_alu instid0(VALU_DEP_3) | instskip(NEXT) | instid1(VALU_DEP_3)
	v_add_f64_e32 v[56:57], v[56:57], v[60:61]
	v_add_f64_e32 v[58:59], v[58:59], v[62:63]
	s_delay_alu instid0(VALU_DEP_2) | instskip(NEXT) | instid1(VALU_DEP_2)
	v_add_f64_e32 v[52:53], v[52:53], v[56:57]
	v_add_f64_e32 v[54:55], v[54:55], v[58:59]
	s_delay_alu instid0(VALU_DEP_2) | instskip(NEXT) | instid1(VALU_DEP_2)
	v_add_f64_e32 v[48:49], v[48:49], v[52:53]
	v_add_f64_e32 v[50:51], v[50:51], v[54:55]
	v_mul_f64_e32 v[52:53], s[10:11], v[158:159]
	v_mul_f64_e32 v[54:55], s[14:15], v[158:159]
	s_delay_alu instid0(VALU_DEP_4) | instskip(NEXT) | instid1(VALU_DEP_4)
	v_add_f64_e32 v[44:45], v[44:45], v[48:49]
	v_add_f64_e32 v[46:47], v[46:47], v[50:51]
	v_mul_f64_e32 v[48:49], s[20:21], v[158:159]
	v_mul_f64_e32 v[50:51], s[26:27], v[158:159]
	v_fma_f64 v[66:67], v[152:153], s[16:17], v[52:53]
	v_fma_f64 v[52:53], v[152:153], s[16:17], -v[52:53]
	v_fma_f64 v[68:69], v[152:153], s[18:19], v[54:55]
	v_fma_f64 v[54:55], v[152:153], s[18:19], -v[54:55]
	v_add_f64_e32 v[40:41], v[40:41], v[44:45]
	v_add_f64_e32 v[42:43], v[42:43], v[46:47]
	v_mul_f64_e32 v[44:45], s[28:29], v[158:159]
	v_mul_f64_e32 v[46:47], s[34:35], v[158:159]
	v_fma_f64 v[62:63], v[152:153], s[24:25], v[48:49]
	v_fma_f64 v[48:49], v[152:153], s[24:25], -v[48:49]
	v_fma_f64 v[64:65], v[152:153], s[22:23], v[50:51]
	v_fma_f64 v[50:51], v[152:153], s[22:23], -v[50:51]
	v_add_f64_e32 v[66:67], v[0:1], v[66:67]
	v_add_f64_e32 v[52:53], v[0:1], v[52:53]
	;; [unrolled: 1-line block ×4, first 2 shown]
	v_mul_f64_e32 v[42:43], s[40:41], v[158:159]
	v_fma_f64 v[58:59], v[152:153], s[36:37], v[44:45]
	v_fma_f64 v[44:45], v[152:153], s[36:37], -v[44:45]
	v_fma_f64 v[60:61], v[152:153], s[30:31], v[46:47]
	v_fma_f64 v[46:47], v[152:153], s[30:31], -v[46:47]
	v_mul_f64_e32 v[40:41], s[6:7], v[164:165]
	v_add_f64_e32 v[62:63], v[0:1], v[62:63]
	v_add_f64_e32 v[48:49], v[0:1], v[48:49]
	;; [unrolled: 1-line block ×6, first 2 shown]
	v_mul_f64_e32 v[36:37], s[18:19], v[164:165]
	v_fma_f64 v[56:57], v[152:153], s[38:39], v[42:43]
	v_fma_f64 v[42:43], v[152:153], s[38:39], -v[42:43]
	v_add_f64_e32 v[58:59], v[0:1], v[58:59]
	v_add_f64_e32 v[44:45], v[0:1], v[44:45]
	;; [unrolled: 1-line block ×6, first 2 shown]
	v_mul_f64_e32 v[28:29], s[16:17], v[164:165]
	v_fma_f64 v[38:39], v[162:163], s[54:55], v[36:37]
	v_fma_f64 v[36:37], v[162:163], s[14:15], v[36:37]
	v_add_f64_e32 v[56:57], v[0:1], v[56:57]
	v_add_f64_e32 v[42:43], v[0:1], v[42:43]
	;; [unrolled: 1-line block ×4, first 2 shown]
	v_mul_f64_e32 v[24:25], s[22:23], v[164:165]
	v_fma_f64 v[30:31], v[162:163], s[50:51], v[28:29]
	v_fma_f64 v[28:29], v[162:163], s[10:11], v[28:29]
	v_add_f64_e32 v[16:17], v[16:17], v[20:21]
	v_add_f64_e32 v[18:19], v[18:19], v[22:23]
	v_mul_f64_e32 v[20:21], s[24:25], v[164:165]
	v_fma_f64 v[26:27], v[162:163], s[48:49], v[24:25]
	v_fma_f64 v[24:25], v[162:163], s[26:27], v[24:25]
	v_add_f64_e32 v[174:175], v[2:3], v[30:31]
	v_add_f64_e32 v[30:31], v[0:1], v[54:55]
	;; [unrolled: 1-line block ×6, first 2 shown]
	v_mul_f64_e32 v[16:17], s[30:31], v[164:165]
	v_fma_f64 v[22:23], v[162:163], s[56:57], v[20:21]
	v_fma_f64 v[20:21], v[162:163], s[20:21], v[20:21]
	v_add_f64_e32 v[170:171], v[2:3], v[26:27]
	v_add_f64_e32 v[26:27], v[0:1], v[70:71]
	;; [unrolled: 1-line block ×6, first 2 shown]
	v_mul_f64_e32 v[12:13], s[36:37], v[164:165]
	v_fma_f64 v[18:19], v[162:163], s[44:45], v[16:17]
	v_fma_f64 v[16:17], v[162:163], s[34:35], v[16:17]
	v_add_f64_e32 v[166:167], v[2:3], v[22:23]
	v_add_f64_e32 v[4:5], v[4:5], v[8:9]
	v_mul_f64_e32 v[8:9], s[38:39], v[164:165]
	v_add_f64_e32 v[6:7], v[6:7], v[10:11]
	v_fma_f64 v[14:15], v[162:163], s[46:47], v[12:13]
	v_fma_f64 v[12:13], v[162:163], s[28:29], v[12:13]
	v_add_f64_e32 v[160:161], v[2:3], v[18:19]
	v_add_f64_e32 v[164:165], v[0:1], v[46:47]
	v_mul_f64_e32 v[18:19], s[36:37], v[106:107]
	v_add_f64_e32 v[46:47], v[2:3], v[20:21]
	v_fma_f64 v[10:11], v[162:163], s[42:43], v[8:9]
	v_fma_f64 v[8:9], v[162:163], s[40:41], v[8:9]
	v_add_f64_e32 v[162:163], v[2:3], v[16:17]
	v_mul_f64_e32 v[16:17], s[6:7], v[102:103]
	v_add_f64_e32 v[158:159], v[2:3], v[12:13]
	v_add_f64_e32 v[12:13], v[0:1], v[68:69]
	v_fma_f64 v[20:21], v[76:77], s[46:47], v[18:19]
	v_add_f64_e32 v[152:153], v[2:3], v[14:15]
	v_add_f64_e32 v[14:15], v[2:3], v[38:39]
	;; [unrolled: 1-line block ×4, first 2 shown]
	v_fma_f64 v[0:1], v[72:73], s[0:1], v[16:17]
	v_fma_f64 v[16:17], v[72:73], s[52:53], v[16:17]
	s_delay_alu instid0(VALU_DEP_2) | instskip(SKIP_1) | instid1(VALU_DEP_3)
	v_add_f64_e32 v[0:1], v[0:1], v[10:11]
	v_mul_f64_e32 v[10:11], s[52:53], v[98:99]
	v_add_f64_e32 v[8:9], v[16:17], v[8:9]
	v_fma_f64 v[16:17], v[76:77], s[28:29], v[18:19]
	v_fma_f64 v[18:19], v[100:101], s[22:23], -v[182:183]
	v_add_f64_e32 v[0:1], v[20:21], v[0:1]
	v_fma_f64 v[2:3], v[74:75], s[6:7], v[10:11]
	v_mul_f64_e32 v[20:21], s[28:29], v[104:105]
	v_fma_f64 v[10:11], v[74:75], s[6:7], -v[10:11]
	v_add_f64_e32 v[8:9], v[16:17], v[8:9]
	s_delay_alu instid0(VALU_DEP_4) | instskip(NEXT) | instid1(VALU_DEP_4)
	v_add_f64_e32 v[2:3], v[2:3], v[56:57]
	v_fma_f64 v[22:23], v[78:79], s[36:37], v[20:21]
	s_delay_alu instid0(VALU_DEP_4) | instskip(SKIP_2) | instid1(VALU_DEP_4)
	v_add_f64_e32 v[10:11], v[10:11], v[42:43]
	v_fma_f64 v[16:17], v[78:79], s[36:37], -v[20:21]
	v_mul_f64_e32 v[20:21], s[16:17], v[102:103]
	v_add_f64_e32 v[2:3], v[22:23], v[2:3]
	v_mul_f64_e32 v[22:23], s[18:19], v[110:111]
	s_delay_alu instid0(VALU_DEP_4) | instskip(NEXT) | instid1(VALU_DEP_2)
	v_add_f64_e32 v[10:11], v[16:17], v[10:11]
	v_fma_f64 v[36:37], v[80:81], s[14:15], v[22:23]
	v_fma_f64 v[16:17], v[80:81], s[54:55], v[22:23]
	v_mul_f64_e32 v[22:23], s[50:51], v[98:99]
	s_delay_alu instid0(VALU_DEP_3) | instskip(SKIP_1) | instid1(VALU_DEP_4)
	v_add_f64_e32 v[0:1], v[36:37], v[0:1]
	v_mul_f64_e32 v[36:37], s[54:55], v[168:169]
	v_add_f64_e32 v[8:9], v[16:17], v[8:9]
	s_delay_alu instid0(VALU_DEP_2) | instskip(SKIP_2) | instid1(VALU_DEP_3)
	v_fma_f64 v[38:39], v[82:83], s[18:19], v[36:37]
	v_fma_f64 v[16:17], v[82:83], s[18:19], -v[36:37]
	v_mul_f64_e32 v[36:37], s[22:23], v[106:107]
	v_add_f64_e32 v[2:3], v[38:39], v[2:3]
	v_mul_f64_e32 v[38:39], s[30:31], v[114:115]
	s_delay_alu instid0(VALU_DEP_4) | instskip(NEXT) | instid1(VALU_DEP_2)
	v_add_f64_e32 v[10:11], v[16:17], v[10:11]
	v_fma_f64 v[40:41], v[84:85], s[44:45], v[38:39]
	v_fma_f64 v[16:17], v[84:85], s[34:35], v[38:39]
	;; [unrolled: 1-line block ×4, first 2 shown]
	s_delay_alu instid0(VALU_DEP_4) | instskip(SKIP_2) | instid1(VALU_DEP_2)
	v_add_f64_e32 v[0:1], v[40:41], v[0:1]
	v_mul_f64_e32 v[40:41], s[34:35], v[112:113]
	v_add_f64_e32 v[8:9], v[16:17], v[8:9]
	v_fma_f64 v[54:55], v[86:87], s[30:31], v[40:41]
	v_fma_f64 v[16:17], v[86:87], s[30:31], -v[40:41]
	s_delay_alu instid0(VALU_DEP_2) | instskip(SKIP_1) | instid1(VALU_DEP_3)
	v_add_f64_e32 v[2:3], v[54:55], v[2:3]
	v_mul_f64_e32 v[54:55], s[16:17], v[118:119]
	v_add_f64_e32 v[10:11], v[16:17], v[10:11]
	s_delay_alu instid0(VALU_DEP_2) | instskip(SKIP_1) | instid1(VALU_DEP_2)
	v_fma_f64 v[56:57], v[88:89], s[10:11], v[54:55]
	v_fma_f64 v[16:17], v[88:89], s[50:51], v[54:55]
	v_add_f64_e32 v[0:1], v[56:57], v[0:1]
	v_mul_f64_e32 v[56:57], s[50:51], v[116:117]
	s_delay_alu instid0(VALU_DEP_3) | instskip(NEXT) | instid1(VALU_DEP_2)
	v_add_f64_e32 v[8:9], v[16:17], v[8:9]
	v_fma_f64 v[68:69], v[90:91], s[16:17], v[56:57]
	v_fma_f64 v[16:17], v[90:91], s[16:17], -v[56:57]
	s_delay_alu instid0(VALU_DEP_2) | instskip(SKIP_1) | instid1(VALU_DEP_3)
	v_add_f64_e32 v[2:3], v[68:69], v[2:3]
	v_mul_f64_e32 v[68:69], s[24:25], v[122:123]
	v_add_f64_e32 v[10:11], v[16:17], v[10:11]
	s_delay_alu instid0(VALU_DEP_2) | instskip(SKIP_1) | instid1(VALU_DEP_2)
	v_fma_f64 v[70:71], v[92:93], s[56:57], v[68:69]
	v_fma_f64 v[16:17], v[92:93], s[20:21], v[68:69]
	v_add_f64_e32 v[0:1], v[70:71], v[0:1]
	v_mul_f64_e32 v[70:71], s[20:21], v[120:121]
	s_delay_alu instid0(VALU_DEP_3) | instskip(NEXT) | instid1(VALU_DEP_2)
	v_add_f64_e32 v[8:9], v[16:17], v[8:9]
	v_fma_f64 v[16:17], v[94:95], s[24:25], -v[70:71]
	v_fma_f64 v[178:179], v[94:95], s[24:25], v[70:71]
	s_delay_alu instid0(VALU_DEP_2) | instskip(SKIP_1) | instid1(VALU_DEP_3)
	v_add_f64_e32 v[16:17], v[16:17], v[10:11]
	v_fma_f64 v[10:11], v[96:97], s[48:49], v[180:181]
	v_add_f64_e32 v[178:179], v[178:179], v[2:3]
	v_fma_f64 v[2:3], v[96:97], s[26:27], v[180:181]
	v_mul_f64_e32 v[180:181], s[24:25], v[126:127]
	s_delay_alu instid0(VALU_DEP_4)
	v_add_f64_e32 v[10:11], v[10:11], v[8:9]
	v_add_f64_e32 v[8:9], v[18:19], v[16:17]
	v_fma_f64 v[16:17], v[72:73], s[10:11], v[20:21]
	v_fma_f64 v[18:19], v[74:75], s[16:17], v[22:23]
	;; [unrolled: 1-line block ×3, first 2 shown]
	v_fma_f64 v[22:23], v[74:75], s[16:17], -v[22:23]
	v_add_f64_e32 v[2:3], v[2:3], v[0:1]
	v_fma_f64 v[0:1], v[100:101], s[22:23], v[182:183]
	v_mul_f64_e32 v[182:183], s[20:21], v[124:125]
	v_add_f64_e32 v[16:17], v[16:17], v[152:153]
	v_add_f64_e32 v[18:19], v[18:19], v[58:59]
	;; [unrolled: 1-line block ×4, first 2 shown]
	v_mul_f64_e32 v[44:45], s[22:23], v[110:111]
	v_add_f64_e32 v[0:1], v[0:1], v[178:179]
	v_mul_f64_e32 v[158:159], s[42:43], v[104:105]
	v_add_f64_e32 v[16:17], v[38:39], v[16:17]
	v_mul_f64_e32 v[38:39], s[26:27], v[104:105]
	v_add_f64_e32 v[20:21], v[36:37], v[20:21]
	v_add_f64_e32 v[44:45], v[138:139], v[44:45]
	v_mul_f64_e32 v[138:139], s[46:47], v[112:113]
	s_delay_alu instid0(VALU_DEP_4) | instskip(SKIP_2) | instid1(VALU_DEP_3)
	v_fma_f64 v[40:41], v[78:79], s[22:23], v[38:39]
	v_fma_f64 v[36:37], v[78:79], s[22:23], -v[38:39]
	v_fma_f64 v[38:39], v[100:101], s[24:25], -v[182:183]
	v_add_f64_e32 v[18:19], v[40:41], v[18:19]
	v_mul_f64_e32 v[40:41], s[30:31], v[110:111]
	s_delay_alu instid0(VALU_DEP_4) | instskip(NEXT) | instid1(VALU_DEP_2)
	v_add_f64_e32 v[22:23], v[36:37], v[22:23]
	v_fma_f64 v[42:43], v[80:81], s[34:35], v[40:41]
	v_fma_f64 v[36:37], v[80:81], s[44:45], v[40:41]
	v_mul_f64_e32 v[40:41], s[16:17], v[106:107]
	s_delay_alu instid0(VALU_DEP_3) | instskip(SKIP_1) | instid1(VALU_DEP_4)
	v_add_f64_e32 v[16:17], v[42:43], v[16:17]
	v_mul_f64_e32 v[42:43], s[44:45], v[168:169]
	v_add_f64_e32 v[20:21], v[36:37], v[20:21]
	s_delay_alu instid0(VALU_DEP_4) | instskip(SKIP_1) | instid1(VALU_DEP_4)
	v_add_f64_e32 v[40:41], v[134:135], v[40:41]
	v_mul_f64_e32 v[134:135], s[40:41], v[168:169]
	v_fma_f64 v[54:55], v[82:83], s[30:31], v[42:43]
	v_fma_f64 v[36:37], v[82:83], s[30:31], -v[42:43]
	v_mul_f64_e32 v[42:43], s[16:17], v[78:79]
	s_delay_alu instid0(VALU_DEP_3) | instskip(SKIP_1) | instid1(VALU_DEP_4)
	v_add_f64_e32 v[18:19], v[54:55], v[18:19]
	v_mul_f64_e32 v[54:55], s[6:7], v[114:115]
	v_add_f64_e32 v[22:23], v[36:37], v[22:23]
	s_delay_alu instid0(VALU_DEP_4) | instskip(SKIP_1) | instid1(VALU_DEP_4)
	v_add_f64_e64 v[42:43], v[42:43], -v[132:133]
	v_mul_f64_e32 v[132:133], s[38:39], v[110:111]
	v_fma_f64 v[56:57], v[84:85], s[52:53], v[54:55]
	v_fma_f64 v[36:37], v[84:85], s[0:1], v[54:55]
	v_mul_f64_e32 v[54:55], s[22:23], v[82:83]
	s_delay_alu instid0(VALU_DEP_3) | instskip(SKIP_1) | instid1(VALU_DEP_4)
	v_add_f64_e32 v[16:17], v[56:57], v[16:17]
	v_mul_f64_e32 v[56:57], s[0:1], v[112:113]
	v_add_f64_e32 v[20:21], v[36:37], v[20:21]
	s_delay_alu instid0(VALU_DEP_4) | instskip(SKIP_1) | instid1(VALU_DEP_4)
	v_add_f64_e64 v[54:55], v[54:55], -v[136:137]
	v_mul_f64_e32 v[136:137], s[36:37], v[114:115]
	v_fma_f64 v[58:59], v[86:87], s[6:7], v[56:57]
	v_fma_f64 v[36:37], v[86:87], s[6:7], -v[56:57]
	v_mul_f64_e32 v[56:57], s[24:25], v[114:115]
	s_delay_alu instid0(VALU_DEP_3) | instskip(SKIP_1) | instid1(VALU_DEP_4)
	v_add_f64_e32 v[18:19], v[58:59], v[18:19]
	v_mul_f64_e32 v[58:59], s[38:39], v[118:119]
	v_add_f64_e32 v[22:23], v[36:37], v[22:23]
	s_delay_alu instid0(VALU_DEP_4) | instskip(SKIP_1) | instid1(VALU_DEP_4)
	v_add_f64_e32 v[56:57], v[142:143], v[56:57]
	v_mul_f64_e32 v[142:143], s[56:57], v[116:117]
	v_fma_f64 v[68:69], v[88:89], s[42:43], v[58:59]
	v_fma_f64 v[36:37], v[88:89], s[40:41], v[58:59]
	v_mul_f64_e32 v[58:59], s[24:25], v[86:87]
	s_delay_alu instid0(VALU_DEP_3) | instskip(SKIP_1) | instid1(VALU_DEP_4)
	v_add_f64_e32 v[16:17], v[68:69], v[16:17]
	v_mul_f64_e32 v[68:69], s[40:41], v[116:117]
	v_add_f64_e32 v[20:21], v[36:37], v[20:21]
	s_delay_alu instid0(VALU_DEP_4) | instskip(SKIP_1) | instid1(VALU_DEP_4)
	v_add_f64_e64 v[58:59], v[58:59], -v[140:141]
	v_mul_f64_e32 v[140:141], s[24:25], v[118:119]
	v_fma_f64 v[70:71], v[90:91], s[38:39], v[68:69]
	v_fma_f64 v[36:37], v[90:91], s[38:39], -v[68:69]
	v_mul_f64_e32 v[68:69], s[30:31], v[118:119]
	s_delay_alu instid0(VALU_DEP_3) | instskip(SKIP_1) | instid1(VALU_DEP_4)
	v_add_f64_e32 v[18:19], v[70:71], v[18:19]
	v_mul_f64_e32 v[70:71], s[18:19], v[122:123]
	v_add_f64_e32 v[22:23], v[36:37], v[22:23]
	s_delay_alu instid0(VALU_DEP_4) | instskip(SKIP_1) | instid1(VALU_DEP_4)
	v_add_f64_e32 v[68:69], v[146:147], v[68:69]
	v_mul_f64_e32 v[146:147], s[50:51], v[120:121]
	v_fma_f64 v[152:153], v[92:93], s[14:15], v[70:71]
	v_fma_f64 v[36:37], v[92:93], s[54:55], v[70:71]
	v_mul_f64_e32 v[70:71], s[26:27], v[98:99]
	s_delay_alu instid0(VALU_DEP_3) | instskip(SKIP_1) | instid1(VALU_DEP_4)
	v_add_f64_e32 v[16:17], v[152:153], v[16:17]
	v_mul_f64_e32 v[152:153], s[54:55], v[120:121]
	v_add_f64_e32 v[20:21], v[36:37], v[20:21]
	s_delay_alu instid0(VALU_DEP_2) | instskip(SKIP_2) | instid1(VALU_DEP_3)
	v_fma_f64 v[36:37], v[94:95], s[18:19], -v[152:153]
	v_fma_f64 v[178:179], v[94:95], s[18:19], v[152:153]
	v_mul_f64_e32 v[152:153], s[30:31], v[102:103]
	v_add_f64_e32 v[36:37], v[36:37], v[22:23]
	v_fma_f64 v[22:23], v[96:97], s[20:21], v[180:181]
	s_delay_alu instid0(VALU_DEP_4) | instskip(SKIP_2) | instid1(VALU_DEP_4)
	v_add_f64_e32 v[178:179], v[178:179], v[18:19]
	v_fma_f64 v[18:19], v[96:97], s[56:57], v[180:181]
	v_mul_f64_e32 v[180:181], s[18:19], v[114:115]
	v_add_f64_e32 v[22:23], v[22:23], v[20:21]
	v_add_f64_e32 v[20:21], v[38:39], v[36:37]
	v_mul_f64_e32 v[36:37], s[18:19], v[102:103]
	v_mul_f64_e32 v[38:39], s[18:19], v[74:75]
	v_add_f64_e32 v[18:19], v[18:19], v[16:17]
	v_fma_f64 v[16:17], v[100:101], s[24:25], v[182:183]
	v_mul_f64_e32 v[182:183], s[54:55], v[112:113]
	v_add_f64_e32 v[36:37], v[130:131], v[36:37]
	v_add_f64_e64 v[38:39], v[38:39], -v[128:129]
	v_mul_f64_e32 v[128:129], s[30:31], v[106:107]
	v_mul_f64_e32 v[130:131], s[34:35], v[104:105]
	v_add_f64_e32 v[16:17], v[16:17], v[178:179]
	v_mul_f64_e32 v[178:179], s[56:57], v[168:169]
	v_add_f64_e32 v[24:25], v[36:37], v[24:25]
	v_add_f64_e32 v[26:27], v[38:39], v[26:27]
	v_mul_f64_e32 v[36:37], s[30:31], v[90:91]
	v_mul_f64_e32 v[38:39], s[36:37], v[122:123]
	s_delay_alu instid0(VALU_DEP_4) | instskip(NEXT) | instid1(VALU_DEP_4)
	v_add_f64_e32 v[24:25], v[40:41], v[24:25]
	v_add_f64_e32 v[26:27], v[42:43], v[26:27]
	s_delay_alu instid0(VALU_DEP_4)
	v_add_f64_e64 v[36:37], v[36:37], -v[144:145]
	v_mul_f64_e32 v[40:41], s[36:37], v[94:95]
	v_add_f64_e32 v[38:39], v[150:151], v[38:39]
	v_mul_f64_e32 v[42:43], s[38:39], v[126:127]
	v_mul_f64_e32 v[144:145], s[16:17], v[122:123]
	;; [unrolled: 1-line block ×3, first 2 shown]
	v_add_f64_e32 v[24:25], v[44:45], v[24:25]
	v_add_f64_e32 v[26:27], v[54:55], v[26:27]
	v_fma_f64 v[44:45], v[76:77], s[56:57], v[198:199]
	v_add_f64_e64 v[40:41], v[40:41], -v[148:149]
	v_mul_f64_e32 v[148:149], s[6:7], v[126:127]
	v_add_f64_e32 v[42:43], v[156:157], v[42:43]
	v_mul_f64_e32 v[156:157], s[38:39], v[106:107]
	v_mul_f64_e32 v[54:55], s[56:57], v[98:99]
	;; [unrolled: 1-line block ×3, first 2 shown]
	v_add_f64_e32 v[24:25], v[56:57], v[24:25]
	v_add_f64_e32 v[26:27], v[58:59], v[26:27]
	v_mul_f64_e32 v[56:57], s[36:37], v[102:103]
	v_mul_f64_e32 v[58:59], s[46:47], v[98:99]
	s_delay_alu instid0(VALU_DEP_4) | instskip(NEXT) | instid1(VALU_DEP_4)
	v_add_f64_e32 v[24:25], v[68:69], v[24:25]
	v_add_f64_e32 v[26:27], v[36:37], v[26:27]
	v_mul_f64_e32 v[36:37], s[38:39], v[100:101]
	v_mul_f64_e32 v[68:69], s[22:23], v[102:103]
	s_delay_alu instid0(VALU_DEP_4) | instskip(NEXT) | instid1(VALU_DEP_4)
	v_add_f64_e32 v[24:25], v[38:39], v[24:25]
	v_add_f64_e32 v[38:39], v[40:41], v[26:27]
	s_delay_alu instid0(VALU_DEP_4) | instskip(SKIP_3) | instid1(VALU_DEP_4)
	v_add_f64_e64 v[36:37], v[36:37], -v[154:155]
	v_mul_f64_e32 v[154:155], s[34:35], v[98:99]
	v_fma_f64 v[40:41], v[76:77], s[42:43], v[156:157]
	v_add_f64_e32 v[26:27], v[42:43], v[24:25]
	v_add_f64_e32 v[24:25], v[36:37], v[38:39]
	v_fma_f64 v[36:37], v[72:73], s[26:27], v[68:69]
	v_fma_f64 v[38:39], v[74:75], s[30:31], -v[154:155]
	v_fma_f64 v[68:69], v[72:73], s[48:49], v[68:69]
	s_delay_alu instid0(VALU_DEP_3) | instskip(SKIP_1) | instid1(VALU_DEP_4)
	v_add_f64_e32 v[28:29], v[36:37], v[28:29]
	v_fma_f64 v[36:37], v[74:75], s[22:23], -v[70:71]
	v_add_f64_e32 v[38:39], v[38:39], v[52:53]
	v_mul_f64_e32 v[52:53], s[24:25], v[102:103]
	v_fma_f64 v[70:71], v[74:75], s[22:23], v[70:71]
	v_add_f64_e32 v[14:15], v[68:69], v[14:15]
	v_fma_f64 v[68:69], v[78:79], s[30:31], v[130:131]
	v_add_f64_e32 v[30:31], v[36:37], v[30:31]
	;; [unrolled: 2-line block ×3, first 2 shown]
	v_fma_f64 v[70:71], v[80:81], s[42:43], v[132:133]
	s_delay_alu instid0(VALU_DEP_3) | instskip(SKIP_1) | instid1(VALU_DEP_4)
	v_add_f64_e32 v[28:29], v[36:37], v[28:29]
	v_fma_f64 v[36:37], v[78:79], s[30:31], -v[130:131]
	v_add_f64_e32 v[12:13], v[68:69], v[12:13]
	v_fma_f64 v[68:69], v[84:85], s[28:29], v[136:137]
	s_delay_alu instid0(VALU_DEP_3) | instskip(SKIP_1) | instid1(VALU_DEP_1)
	v_add_f64_e32 v[30:31], v[36:37], v[30:31]
	v_fma_f64 v[36:37], v[80:81], s[40:41], v[132:133]
	v_add_f64_e32 v[28:29], v[36:37], v[28:29]
	v_fma_f64 v[36:37], v[82:83], s[38:39], -v[134:135]
	s_delay_alu instid0(VALU_DEP_1) | instskip(SKIP_1) | instid1(VALU_DEP_1)
	v_add_f64_e32 v[30:31], v[36:37], v[30:31]
	v_fma_f64 v[36:37], v[84:85], s[46:47], v[136:137]
	v_add_f64_e32 v[28:29], v[36:37], v[28:29]
	v_fma_f64 v[36:37], v[86:87], s[36:37], -v[138:139]
	s_delay_alu instid0(VALU_DEP_1) | instskip(SKIP_1) | instid1(VALU_DEP_1)
	;; [unrolled: 5-line block ×5, first 2 shown]
	v_add_f64_e32 v[28:29], v[28:29], v[36:37]
	v_fma_f64 v[36:37], v[72:73], s[34:35], v[152:153]
	v_add_f64_e32 v[36:37], v[36:37], v[176:177]
	v_mul_f64_e32 v[176:177], s[24:25], v[110:111]
	s_delay_alu instid0(VALU_DEP_2) | instskip(SKIP_1) | instid1(VALU_DEP_1)
	v_add_f64_e32 v[36:37], v[40:41], v[36:37]
	v_fma_f64 v[40:41], v[78:79], s[38:39], -v[158:159]
	v_add_f64_e32 v[38:39], v[40:41], v[38:39]
	s_delay_alu instid0(VALU_DEP_4) | instskip(NEXT) | instid1(VALU_DEP_1)
	v_fma_f64 v[40:41], v[80:81], s[56:57], v[176:177]
	v_add_f64_e32 v[36:37], v[40:41], v[36:37]
	v_fma_f64 v[40:41], v[82:83], s[24:25], -v[178:179]
	s_delay_alu instid0(VALU_DEP_1) | instskip(SKIP_1) | instid1(VALU_DEP_1)
	v_add_f64_e32 v[38:39], v[40:41], v[38:39]
	v_fma_f64 v[40:41], v[84:85], s[54:55], v[180:181]
	v_add_f64_e32 v[36:37], v[40:41], v[36:37]
	v_fma_f64 v[40:41], v[86:87], s[18:19], -v[182:183]
	s_delay_alu instid0(VALU_DEP_1) | instskip(SKIP_1) | instid1(VALU_DEP_1)
	v_add_f64_e32 v[38:39], v[40:41], v[38:39]
	;; [unrolled: 5-line block ×5, first 2 shown]
	v_fma_f64 v[40:41], v[72:73], s[40:41], v[196:197]
	v_add_f64_e32 v[40:41], v[40:41], v[172:173]
	v_mul_f64_e32 v[172:173], s[40:41], v[98:99]
	v_mul_f64_e32 v[98:99], s[6:7], v[106:107]
	s_delay_alu instid0(VALU_DEP_3) | instskip(NEXT) | instid1(VALU_DEP_3)
	v_add_f64_e32 v[40:41], v[44:45], v[40:41]
	v_fma_f64 v[42:43], v[74:75], s[38:39], -v[172:173]
	v_fma_f64 v[44:45], v[78:79], s[24:25], -v[200:201]
	s_delay_alu instid0(VALU_DEP_4) | instskip(NEXT) | instid1(VALU_DEP_3)
	v_fma_f64 v[102:103], v[76:77], s[0:1], v[98:99]
	v_add_f64_e32 v[42:43], v[42:43], v[50:51]
	v_fma_f64 v[50:51], v[74:75], s[24:25], -v[54:55]
	v_fma_f64 v[54:55], v[74:75], s[24:25], v[54:55]
	s_delay_alu instid0(VALU_DEP_3) | instskip(SKIP_1) | instid1(VALU_DEP_4)
	v_add_f64_e32 v[42:43], v[44:45], v[42:43]
	v_fma_f64 v[44:45], v[80:81], s[52:53], v[202:203]
	v_add_f64_e32 v[50:51], v[50:51], v[164:165]
	s_delay_alu instid0(VALU_DEP_4) | instskip(SKIP_1) | instid1(VALU_DEP_4)
	v_add_f64_e32 v[54:55], v[54:55], v[60:61]
	v_fma_f64 v[60:61], v[76:77], s[52:53], v[98:99]
	v_add_f64_e32 v[40:41], v[44:45], v[40:41]
	v_fma_f64 v[44:45], v[82:83], s[6:7], -v[204:205]
	s_delay_alu instid0(VALU_DEP_1) | instskip(SKIP_1) | instid1(VALU_DEP_1)
	v_add_f64_e32 v[42:43], v[44:45], v[42:43]
	v_fma_f64 v[44:45], v[84:85], s[10:11], v[206:207]
	v_add_f64_e32 v[40:41], v[44:45], v[40:41]
	v_fma_f64 v[44:45], v[86:87], s[16:17], -v[208:209]
	s_delay_alu instid0(VALU_DEP_1) | instskip(SKIP_1) | instid1(VALU_DEP_1)
	;; [unrolled: 5-line block ×4, first 2 shown]
	v_add_f64_e32 v[44:45], v[44:45], v[42:43]
	v_fma_f64 v[42:43], v[96:97], s[54:55], v[218:219]
	v_add_f64_e32 v[42:43], v[42:43], v[40:41]
	v_fma_f64 v[40:41], v[100:101], s[18:19], -v[220:221]
	s_delay_alu instid0(VALU_DEP_1) | instskip(SKIP_2) | instid1(VALU_DEP_2)
	v_add_f64_e32 v[40:41], v[40:41], v[44:45]
	v_fma_f64 v[44:45], v[72:73], s[46:47], v[56:57]
	v_fma_f64 v[56:57], v[72:73], s[28:29], v[56:57]
	v_add_f64_e32 v[44:45], v[44:45], v[46:47]
	v_fma_f64 v[46:47], v[74:75], s[36:37], -v[58:59]
	s_delay_alu instid0(VALU_DEP_3) | instskip(SKIP_1) | instid1(VALU_DEP_3)
	v_add_f64_e32 v[56:57], v[56:57], v[166:167]
	v_fma_f64 v[58:59], v[74:75], s[36:37], v[58:59]
	v_add_f64_e32 v[46:47], v[46:47], v[48:49]
	v_fma_f64 v[48:49], v[76:77], s[54:55], v[222:223]
	s_delay_alu instid0(VALU_DEP_3) | instskip(SKIP_1) | instid1(VALU_DEP_3)
	v_add_f64_e32 v[58:59], v[58:59], v[62:63]
	v_fma_f64 v[62:63], v[100:101], s[30:31], v[244:245]
	v_add_f64_e32 v[44:45], v[48:49], v[44:45]
	v_fma_f64 v[48:49], v[78:79], s[18:19], -v[224:225]
	s_delay_alu instid0(VALU_DEP_1) | instskip(SKIP_1) | instid1(VALU_DEP_1)
	v_add_f64_e32 v[46:47], v[48:49], v[46:47]
	v_fma_f64 v[48:49], v[80:81], s[10:11], v[226:227]
	v_add_f64_e32 v[44:45], v[48:49], v[44:45]
	v_fma_f64 v[48:49], v[82:83], s[16:17], -v[228:229]
	s_delay_alu instid0(VALU_DEP_1) | instskip(SKIP_1) | instid1(VALU_DEP_1)
	v_add_f64_e32 v[46:47], v[48:49], v[46:47]
	v_fma_f64 v[48:49], v[84:85], s[40:41], v[230:231]
	v_add_f64_e32 v[44:45], v[48:49], v[44:45]
	v_fma_f64 v[48:49], v[86:87], s[38:39], -v[232:233]
	s_delay_alu instid0(VALU_DEP_1) | instskip(SKIP_1) | instid1(VALU_DEP_1)
	v_add_f64_e32 v[46:47], v[48:49], v[46:47]
	v_fma_f64 v[48:49], v[88:89], s[48:49], v[234:235]
	v_add_f64_e32 v[44:45], v[48:49], v[44:45]
	v_fma_f64 v[48:49], v[90:91], s[22:23], -v[236:237]
	s_delay_alu instid0(VALU_DEP_1) | instskip(SKIP_1) | instid1(VALU_DEP_1)
	v_add_f64_e32 v[46:47], v[48:49], v[46:47]
	v_fma_f64 v[48:49], v[92:93], s[0:1], v[238:239]
	v_add_f64_e32 v[44:45], v[48:49], v[44:45]
	v_fma_f64 v[48:49], v[94:95], s[6:7], -v[240:241]
	s_delay_alu instid0(VALU_DEP_1) | instskip(SKIP_1) | instid1(VALU_DEP_1)
	v_add_f64_e32 v[48:49], v[48:49], v[46:47]
	v_fma_f64 v[46:47], v[96:97], s[34:35], v[242:243]
	v_add_f64_e32 v[46:47], v[46:47], v[44:45]
	v_fma_f64 v[44:45], v[100:101], s[30:31], -v[244:245]
	s_delay_alu instid0(VALU_DEP_1) | instskip(SKIP_2) | instid1(VALU_DEP_2)
	v_add_f64_e32 v[44:45], v[44:45], v[48:49]
	v_fma_f64 v[48:49], v[72:73], s[56:57], v[52:53]
	v_fma_f64 v[52:53], v[72:73], s[20:21], v[52:53]
	v_add_f64_e32 v[48:49], v[48:49], v[162:163]
	s_delay_alu instid0(VALU_DEP_2) | instskip(NEXT) | instid1(VALU_DEP_2)
	v_add_f64_e32 v[52:53], v[52:53], v[160:161]
	v_add_f64_e32 v[48:49], v[102:103], v[48:49]
	v_mul_f64_e32 v[102:103], s[0:1], v[104:105]
	s_delay_alu instid0(VALU_DEP_3) | instskip(NEXT) | instid1(VALU_DEP_2)
	v_add_f64_e32 v[52:53], v[60:61], v[52:53]
	v_fma_f64 v[104:105], v[78:79], s[6:7], -v[102:103]
	v_fma_f64 v[60:61], v[78:79], s[6:7], v[102:103]
	v_fma_f64 v[102:103], v[100:101], s[36:37], v[194:195]
	s_delay_alu instid0(VALU_DEP_3) | instskip(SKIP_3) | instid1(VALU_DEP_3)
	v_add_f64_e32 v[50:51], v[104:105], v[50:51]
	v_mul_f64_e32 v[104:105], s[36:37], v[110:111]
	v_mul_f64_e32 v[111:112], s[48:49], v[112:113]
	v_add_f64_e32 v[54:55], v[60:61], v[54:55]
	v_fma_f64 v[106:107], v[80:81], s[28:29], v[104:105]
	v_fma_f64 v[60:61], v[80:81], s[46:47], v[104:105]
	s_delay_alu instid0(VALU_DEP_2) | instskip(SKIP_1) | instid1(VALU_DEP_3)
	v_add_f64_e32 v[48:49], v[106:107], v[48:49]
	v_mul_f64_e32 v[106:107], s[28:29], v[168:169]
	v_add_f64_e32 v[52:53], v[60:61], v[52:53]
	s_delay_alu instid0(VALU_DEP_2) | instskip(SKIP_1) | instid1(VALU_DEP_2)
	v_fma_f64 v[109:110], v[82:83], s[36:37], -v[106:107]
	v_fma_f64 v[60:61], v[82:83], s[36:37], v[106:107]
	v_add_f64_e32 v[50:51], v[109:110], v[50:51]
	v_mul_f64_e32 v[109:110], s[22:23], v[114:115]
	s_delay_alu instid0(VALU_DEP_3) | instskip(NEXT) | instid1(VALU_DEP_2)
	v_add_f64_e32 v[54:55], v[60:61], v[54:55]
	v_fma_f64 v[114:115], v[84:85], s[48:49], v[109:110]
	v_fma_f64 v[60:61], v[84:85], s[26:27], v[109:110]
	s_delay_alu instid0(VALU_DEP_2) | instskip(SKIP_2) | instid1(VALU_DEP_4)
	v_add_f64_e32 v[48:49], v[114:115], v[48:49]
	v_fma_f64 v[113:114], v[86:87], s[22:23], -v[111:112]
	v_mul_f64_e32 v[115:116], s[14:15], v[116:117]
	v_add_f64_e32 v[52:53], v[60:61], v[52:53]
	v_fma_f64 v[60:61], v[86:87], s[22:23], v[111:112]
	s_delay_alu instid0(VALU_DEP_4) | instskip(SKIP_1) | instid1(VALU_DEP_3)
	v_add_f64_e32 v[50:51], v[113:114], v[50:51]
	v_mul_f64_e32 v[113:114], s[18:19], v[118:119]
	v_add_f64_e32 v[54:55], v[60:61], v[54:55]
	s_delay_alu instid0(VALU_DEP_2) | instskip(SKIP_1) | instid1(VALU_DEP_2)
	v_fma_f64 v[118:119], v[88:89], s[14:15], v[113:114]
	v_fma_f64 v[60:61], v[88:89], s[54:55], v[113:114]
	v_add_f64_e32 v[48:49], v[118:119], v[48:49]
	v_fma_f64 v[117:118], v[90:91], s[18:19], -v[115:116]
	s_delay_alu instid0(VALU_DEP_3) | instskip(SKIP_2) | instid1(VALU_DEP_4)
	v_add_f64_e32 v[52:53], v[60:61], v[52:53]
	v_fma_f64 v[60:61], v[90:91], s[18:19], v[115:116]
	v_mul_f64_e32 v[119:120], s[40:41], v[120:121]
	v_add_f64_e32 v[50:51], v[117:118], v[50:51]
	v_mul_f64_e32 v[117:118], s[38:39], v[122:123]
	s_delay_alu instid0(VALU_DEP_4) | instskip(NEXT) | instid1(VALU_DEP_2)
	v_add_f64_e32 v[54:55], v[60:61], v[54:55]
	v_fma_f64 v[122:123], v[92:93], s[40:41], v[117:118]
	v_fma_f64 v[60:61], v[92:93], s[42:43], v[117:118]
	s_delay_alu instid0(VALU_DEP_2) | instskip(SKIP_1) | instid1(VALU_DEP_3)
	v_add_f64_e32 v[48:49], v[122:123], v[48:49]
	v_mul_f64_e32 v[123:124], s[50:51], v[124:125]
	v_add_f64_e32 v[52:53], v[60:61], v[52:53]
	v_fma_f64 v[60:61], v[94:95], s[38:39], v[119:120]
	v_fma_f64 v[121:122], v[94:95], s[38:39], -v[119:120]
	s_delay_alu instid0(VALU_DEP_4) | instskip(NEXT) | instid1(VALU_DEP_3)
	v_fma_f64 v[98:99], v[100:101], s[16:17], v[123:124]
	v_add_f64_e32 v[60:61], v[60:61], v[54:55]
	v_fma_f64 v[54:55], v[96:97], s[10:11], v[126:127]
	s_delay_alu instid0(VALU_DEP_4) | instskip(SKIP_1) | instid1(VALU_DEP_3)
	v_add_f64_e32 v[121:122], v[121:122], v[50:51]
	v_fma_f64 v[50:51], v[96:97], s[50:51], v[126:127]
	v_add_f64_e32 v[54:55], v[54:55], v[52:53]
	v_add_f64_e32 v[52:53], v[98:99], v[60:61]
	v_fma_f64 v[60:61], v[76:77], s[14:15], v[222:223]
	v_fma_f64 v[98:99], v[100:101], s[18:19], v[220:221]
	v_add_f64_e32 v[50:51], v[50:51], v[48:49]
	v_fma_f64 v[48:49], v[100:101], s[16:17], -v[123:124]
	s_delay_alu instid0(VALU_DEP_4) | instskip(SKIP_1) | instid1(VALU_DEP_3)
	v_add_f64_e32 v[56:57], v[60:61], v[56:57]
	v_fma_f64 v[60:61], v[78:79], s[18:19], v[224:225]
	v_add_f64_e32 v[48:49], v[48:49], v[121:122]
	s_delay_alu instid0(VALU_DEP_2) | instskip(SKIP_1) | instid1(VALU_DEP_1)
	v_add_f64_e32 v[58:59], v[60:61], v[58:59]
	v_fma_f64 v[60:61], v[80:81], s[50:51], v[226:227]
	v_add_f64_e32 v[56:57], v[60:61], v[56:57]
	v_fma_f64 v[60:61], v[82:83], s[16:17], v[228:229]
	s_delay_alu instid0(VALU_DEP_1) | instskip(SKIP_1) | instid1(VALU_DEP_1)
	v_add_f64_e32 v[58:59], v[60:61], v[58:59]
	v_fma_f64 v[60:61], v[84:85], s[42:43], v[230:231]
	v_add_f64_e32 v[56:57], v[60:61], v[56:57]
	v_fma_f64 v[60:61], v[86:87], s[38:39], v[232:233]
	s_delay_alu instid0(VALU_DEP_1) | instskip(SKIP_1) | instid1(VALU_DEP_1)
	;; [unrolled: 5-line block ×4, first 2 shown]
	v_add_f64_e32 v[60:61], v[60:61], v[58:59]
	v_fma_f64 v[58:59], v[96:97], s[44:45], v[242:243]
	v_add_f64_e32 v[58:59], v[58:59], v[56:57]
	s_delay_alu instid0(VALU_DEP_3) | instskip(SKIP_2) | instid1(VALU_DEP_2)
	v_add_f64_e32 v[56:57], v[62:63], v[60:61]
	v_fma_f64 v[60:61], v[72:73], s[42:43], v[196:197]
	v_fma_f64 v[62:63], v[74:75], s[38:39], v[172:173]
	v_add_f64_e32 v[60:61], v[60:61], v[170:171]
	s_delay_alu instid0(VALU_DEP_2) | instskip(SKIP_1) | instid1(VALU_DEP_1)
	v_add_f64_e32 v[62:63], v[62:63], v[64:65]
	v_fma_f64 v[64:65], v[76:77], s[20:21], v[198:199]
	v_add_f64_e32 v[60:61], v[64:65], v[60:61]
	v_fma_f64 v[64:65], v[78:79], s[24:25], v[200:201]
	s_delay_alu instid0(VALU_DEP_1) | instskip(SKIP_1) | instid1(VALU_DEP_1)
	v_add_f64_e32 v[62:63], v[64:65], v[62:63]
	v_fma_f64 v[64:65], v[80:81], s[0:1], v[202:203]
	v_add_f64_e32 v[60:61], v[64:65], v[60:61]
	v_fma_f64 v[64:65], v[82:83], s[6:7], v[204:205]
	s_delay_alu instid0(VALU_DEP_1) | instskip(SKIP_1) | instid1(VALU_DEP_1)
	v_add_f64_e32 v[62:63], v[64:65], v[62:63]
	v_fma_f64 v[64:65], v[84:85], s[50:51], v[206:207]
	v_add_f64_e32 v[60:61], v[64:65], v[60:61]
	v_fma_f64 v[64:65], v[86:87], s[16:17], v[208:209]
	s_delay_alu instid0(VALU_DEP_1) | instskip(SKIP_1) | instid1(VALU_DEP_1)
	v_add_f64_e32 v[62:63], v[64:65], v[62:63]
	v_fma_f64 v[64:65], v[88:89], s[46:47], v[210:211]
	v_add_f64_e32 v[60:61], v[64:65], v[60:61]
	v_fma_f64 v[64:65], v[90:91], s[36:37], v[212:213]
	s_delay_alu instid0(VALU_DEP_1) | instskip(SKIP_1) | instid1(VALU_DEP_1)
	v_add_f64_e32 v[62:63], v[64:65], v[62:63]
	v_fma_f64 v[64:65], v[92:93], s[34:35], v[214:215]
	v_add_f64_e32 v[60:61], v[64:65], v[60:61]
	v_fma_f64 v[64:65], v[94:95], s[30:31], v[216:217]
	s_delay_alu instid0(VALU_DEP_1) | instskip(SKIP_1) | instid1(VALU_DEP_1)
	v_add_f64_e32 v[64:65], v[64:65], v[62:63]
	v_fma_f64 v[62:63], v[96:97], s[14:15], v[218:219]
	v_add_f64_e32 v[62:63], v[62:63], v[60:61]
	s_delay_alu instid0(VALU_DEP_3) | instskip(SKIP_3) | instid1(VALU_DEP_3)
	v_add_f64_e32 v[60:61], v[98:99], v[64:65]
	v_fma_f64 v[64:65], v[72:73], s[44:45], v[152:153]
	v_fma_f64 v[98:99], v[74:75], s[30:31], v[154:155]
	;; [unrolled: 1-line block ×3, first 2 shown]
	v_add_f64_e32 v[64:65], v[64:65], v[174:175]
	s_delay_alu instid0(VALU_DEP_3) | instskip(SKIP_1) | instid1(VALU_DEP_4)
	v_add_f64_e32 v[66:67], v[98:99], v[66:67]
	v_fma_f64 v[98:99], v[76:77], s[40:41], v[156:157]
	v_add_f64_e32 v[14:15], v[72:73], v[14:15]
	v_fma_f64 v[72:73], v[82:83], s[38:39], v[134:135]
	s_delay_alu instid0(VALU_DEP_3) | instskip(SKIP_1) | instid1(VALU_DEP_4)
	v_add_f64_e32 v[64:65], v[98:99], v[64:65]
	v_fma_f64 v[98:99], v[78:79], s[38:39], v[158:159]
	v_add_f64_e32 v[14:15], v[70:71], v[14:15]
	v_fma_f64 v[70:71], v[86:87], s[36:37], v[138:139]
	;; [unrolled: 2-line block ×11, first 2 shown]
	v_add_f64_e32 v[12:13], v[72:73], v[12:13]
	s_delay_alu instid0(VALU_DEP_4) | instskip(SKIP_2) | instid1(VALU_DEP_4)
	v_add_f64_e32 v[64:65], v[98:99], v[64:65]
	v_fma_f64 v[98:99], v[86:87], s[18:19], v[182:183]
	v_add_f64_e32 v[14:15], v[68:69], v[14:15]
	v_add_f64_e32 v[12:13], v[70:71], v[12:13]
	v_mul_lo_u16 v68, v246, 17
	s_delay_alu instid0(VALU_DEP_1) | instskip(NEXT) | instid1(VALU_DEP_1)
	v_and_b32_e32 v68, 0xffff, v68
	v_lshlrev_b32_e32 v68, 4, v68
	v_add_f64_e32 v[66:67], v[98:99], v[66:67]
	v_fma_f64 v[98:99], v[88:89], s[52:53], v[184:185]
	s_delay_alu instid0(VALU_DEP_1) | instskip(SKIP_1) | instid1(VALU_DEP_1)
	v_add_f64_e32 v[64:65], v[98:99], v[64:65]
	v_fma_f64 v[98:99], v[90:91], s[6:7], v[186:187]
	v_add_f64_e32 v[66:67], v[98:99], v[66:67]
	v_fma_f64 v[98:99], v[92:93], s[48:49], v[188:189]
	s_delay_alu instid0(VALU_DEP_1) | instskip(SKIP_1) | instid1(VALU_DEP_1)
	v_add_f64_e32 v[64:65], v[98:99], v[64:65]
	v_fma_f64 v[98:99], v[94:95], s[22:23], v[190:191]
	v_add_f64_e32 v[98:99], v[98:99], v[66:67]
	v_fma_f64 v[66:67], v[96:97], s[46:47], v[192:193]
	s_delay_alu instid0(VALU_DEP_1) | instskip(NEXT) | instid1(VALU_DEP_3)
	v_add_f64_e32 v[66:67], v[66:67], v[64:65]
	v_add_f64_e32 v[64:65], v[102:103], v[98:99]
	ds_store_b128 v68, v[4:7]
	ds_store_b128 v68, v[24:27] offset:16
	ds_store_b128 v68, v[28:31] offset:32
	;; [unrolled: 1-line block ×16, first 2 shown]
.LBB0_7:
	s_or_b32 exec_lo, exec_lo, s33
	v_add_nc_u16 v0, v246, 0x77
	v_and_b32_e32 v3, 0xff, v246
	v_add_nc_u16 v2, v246, 0xee
	v_add_co_u32 v5, null, 0x165, v246
	s_delay_alu instid0(VALU_DEP_4) | instskip(NEXT) | instid1(VALU_DEP_4)
	v_and_b32_e32 v1, 0xff, v0
	v_mul_lo_u16 v39, 0xf1, v3
	s_delay_alu instid0(VALU_DEP_4) | instskip(SKIP_1) | instid1(VALU_DEP_4)
	v_and_b32_e32 v3, 0xffff, v2
	v_add_co_u32 v7, null, 0x1dc, v246
	v_mul_lo_u16 v36, 0xf1, v1
	s_delay_alu instid0(VALU_DEP_4) | instskip(NEXT) | instid1(VALU_DEP_4)
	v_lshrrev_b16 v38, 12, v39
	v_mul_u32_u24_e32 v3, 0xf0f1, v3
	v_add_co_u32 v8, null, 0x253, v246
	s_delay_alu instid0(VALU_DEP_4) | instskip(NEXT) | instid1(VALU_DEP_4)
	v_lshrrev_b16 v13, 12, v36
	v_mul_lo_u16 v4, v38, 17
	s_delay_alu instid0(VALU_DEP_4)
	v_lshrrev_b32_e32 v6, 20, v3
	v_and_b32_e32 v17, 0xffff, v5
	v_and_b32_e32 v18, 0xffff, v7
	v_mul_lo_u16 v9, v13, 17
	v_sub_nc_u16 v4, v246, v4
	v_mul_lo_u16 v12, v6, 17
	v_add_co_u32 v11, null, 0x2ca, v246
	s_delay_alu instid0(VALU_DEP_4) | instskip(NEXT) | instid1(VALU_DEP_4)
	v_sub_nc_u16 v10, v0, v9
	v_and_b32_e32 v9, 0xff, v4
	s_load_b128 s[4:7], s[4:5], 0x0
	global_wb scope:SCOPE_SE
	s_wait_dscnt 0x0
	s_wait_kmcnt 0x0
	s_barrier_signal -1
	v_and_b32_e32 v4, 0xff, v10
	v_lshlrev_b32_e32 v14, 4, v9
	v_sub_nc_u16 v10, v2, v12
	v_add_co_u32 v12, null, 0x341, v246
	s_delay_alu instid0(VALU_DEP_4)
	v_lshlrev_b32_e32 v15, 4, v4
	s_barrier_wait -1
	global_inv scope:SCOPE_SE
	v_mul_u32_u24_e32 v40, 0xf0f1, v17
	s_clause 0x1
	global_load_b128 v[123:126], v14, s[2:3]
	global_load_b128 v[119:122], v15, s[2:3]
	v_and_b32_e32 v15, 0xffff, v8
	v_mul_u32_u24_e32 v41, 0xf0f1, v18
	v_and_b32_e32 v17, 0xffff, v11
	v_and_b32_e32 v18, 0xffff, v12
	v_lshrrev_b32_e32 v14, 20, v40
	v_mul_u32_u24_e32 v43, 0xf0f1, v15
	v_lshrrev_b32_e32 v15, 20, v41
	v_mul_u32_u24_e32 v42, 0xf0f1, v17
	v_mul_u32_u24_e32 v37, 0xf0f1, v18
	v_mul_lo_u16 v17, v14, 17
	v_lshrrev_b32_e32 v24, 20, v43
	v_mul_lo_u16 v18, v15, 17
	v_lshrrev_b32_e32 v25, 20, v42
	v_lshrrev_b32_e32 v26, 20, v37
	v_sub_nc_u16 v27, v5, v17
	v_mul_lo_u16 v17, v24, 17
	v_sub_nc_u16 v28, v7, v18
	v_mul_lo_u16 v18, v25, 17
	v_mul_lo_u16 v19, v26, 17
	v_and_b32_e32 v16, 0xffff, v10
	v_sub_nc_u16 v29, v8, v17
	v_and_b32_e32 v17, 0xffff, v28
	v_and_b32_e32 v20, 0xffff, v27
	v_sub_nc_u16 v30, v11, v18
	v_sub_nc_u16 v31, v12, v19
	v_lshlrev_b32_e32 v16, 4, v16
	v_and_b32_e32 v19, 0xffff, v29
	v_lshlrev_b32_e32 v17, 4, v17
	v_lshlrev_b32_e32 v18, 4, v20
	v_and_b32_e32 v20, 0xffff, v30
	v_and_b32_e32 v21, 0xffff, v31
	s_clause 0x1
	global_load_b128 v[147:150], v16, s[2:3]
	global_load_b128 v[139:142], v17, s[2:3]
	v_lshlrev_b32_e32 v16, 4, v19
	global_load_b128 v[143:146], v18, s[2:3]
	v_lshlrev_b32_e32 v18, 4, v20
	v_lshlrev_b32_e32 v17, 4, v21
	s_clause 0x2
	global_load_b128 v[135:138], v16, s[2:3]
	global_load_b128 v[131:134], v18, s[2:3]
	;; [unrolled: 1-line block ×3, first 2 shown]
	v_and_b32_e32 v16, 0xffff, v246
	v_lshrrev_b16 v109, 13, v39
	v_mul_lo_u16 v38, v38, 34
	v_and_b32_e32 v13, 0xffff, v13
	v_cmp_gt_u16_e64 s0, 34, v246
	v_lshlrev_b32_e32 v110, 4, v16
	ds_load_b128 v[52:55], v110 offset:15232
	ds_load_b128 v[56:59], v110 offset:17136
	;; [unrolled: 1-line block ×8, first 2 shown]
	ds_load_b128 v[48:51], v110
	ds_load_b128 v[44:47], v110 offset:1904
	ds_load_b128 v[20:23], v110 offset:3808
	;; [unrolled: 1-line block ×3, first 2 shown]
	v_mul_lo_u16 v39, v109, 34
                                        ; implicit-def: $vgpr152_vgpr153
                                        ; implicit-def: $vgpr156_vgpr157
	s_wait_loadcnt_dscnt 0x70b
	v_mul_f64_e32 v[84:85], v[54:55], v[125:126]
	v_mul_f64_e32 v[86:87], v[52:53], v[125:126]
	s_wait_loadcnt_dscnt 0x60a
	v_mul_f64_e32 v[88:89], v[58:59], v[121:122]
	v_mul_f64_e32 v[90:91], v[56:57], v[121:122]
	s_clause 0x1
	scratch_store_b128 off, v[123:126], off offset:60
	scratch_store_b128 off, v[119:122], off offset:44
	v_lshrrev_b32_e32 v125, 21, v37
	v_and_b32_e32 v126, 0xfe, v38
	v_lshrrev_b32_e32 v121, 21, v40
	v_lshrrev_b32_e32 v122, 21, v41
	s_wait_loadcnt_dscnt 0x509
	v_mul_f64_e32 v[92:93], v[62:63], v[149:150]
	v_mul_f64_e32 v[94:95], v[60:61], v[149:150]
	s_wait_loadcnt_dscnt 0x407
	v_mul_f64_e32 v[100:101], v[70:71], v[141:142]
	s_wait_loadcnt 0x3
	v_mul_f64_e32 v[96:97], v[66:67], v[145:146]
	v_mul_f64_e32 v[98:99], v[64:65], v[145:146]
	;; [unrolled: 1-line block ×3, first 2 shown]
	s_wait_loadcnt_dscnt 0x206
	v_mul_f64_e32 v[104:105], v[74:75], v[137:138]
	v_mul_f64_e32 v[106:107], v[72:73], v[137:138]
	s_wait_loadcnt_dscnt 0x105
	v_mul_f64_e32 v[111:112], v[78:79], v[133:134]
	v_mul_f64_e32 v[113:114], v[76:77], v[133:134]
	;; [unrolled: 3-line block ×3, first 2 shown]
	v_fma_f64 v[84:85], v[52:53], v[123:124], -v[84:85]
	v_fma_f64 v[86:87], v[54:55], v[123:124], v[86:87]
	v_fma_f64 v[88:89], v[56:57], v[119:120], -v[88:89]
	v_fma_f64 v[90:91], v[58:59], v[119:120], v[90:91]
	s_clause 0x5
	scratch_store_b128 off, v[147:150], off offset:156
	scratch_store_b128 off, v[143:146], off offset:140
	scratch_store_b128 off, v[139:142], off offset:124
	scratch_store_b128 off, v[135:138], off offset:108
	scratch_store_b128 off, v[131:134], off offset:92
	scratch_store_b128 off, v[127:130], off offset:76
	v_lshrrev_b16 v119, 13, v36
	v_lshrrev_b32_e32 v123, 21, v43
	v_lshrrev_b32_e32 v124, 21, v42
	v_lshrrev_b32_e32 v120, 21, v3
	v_mul_lo_u16 v130, v121, 34
	s_delay_alu instid0(VALU_DEP_2)
	v_mul_lo_u16 v129, v120, 34
	v_fma_f64 v[92:93], v[60:61], v[147:148], -v[92:93]
	v_fma_f64 v[94:95], v[62:63], v[147:148], v[94:95]
	v_fma_f64 v[100:101], v[68:69], v[139:140], -v[100:101]
	v_fma_f64 v[96:97], v[64:65], v[143:144], -v[96:97]
	v_fma_f64 v[98:99], v[66:67], v[143:144], v[98:99]
	v_fma_f64 v[102:103], v[70:71], v[139:140], v[102:103]
	v_fma_f64 v[104:105], v[72:73], v[135:136], -v[104:105]
	v_fma_f64 v[106:107], v[74:75], v[135:136], v[106:107]
	v_fma_f64 v[111:112], v[76:77], v[131:132], -v[111:112]
	v_fma_f64 v[113:114], v[78:79], v[131:132], v[113:114]
	v_fma_f64 v[115:116], v[80:81], v[127:128], -v[115:116]
	v_fma_f64 v[117:118], v[82:83], v[127:128], v[117:118]
	ds_load_b128 v[52:55], v110 offset:7616
	ds_load_b128 v[56:59], v110 offset:9520
	;; [unrolled: 1-line block ×4, first 2 shown]
	v_sub_nc_u16 v127, v246, v39
	s_wait_dscnt 0x7
	v_add_f64_e64 v[36:37], v[48:49], -v[84:85]
	v_add_f64_e64 v[38:39], v[50:51], -v[86:87]
	s_wait_dscnt 0x6
	v_add_f64_e64 v[40:41], v[44:45], -v[88:89]
	v_add_f64_e64 v[42:43], v[46:47], -v[90:91]
	v_mul_lo_u16 v128, v119, 34
	v_mul_lo_u16 v131, v122, 34
	;; [unrolled: 1-line block ×3, first 2 shown]
	v_and_b32_e32 v127, 0xff, v127
	global_wb scope:SCOPE_SE
	s_wait_storecnt_dscnt 0x0
	s_barrier_signal -1
	s_barrier_wait -1
	global_inv scope:SCOPE_SE
	v_add_f64_e64 v[68:69], v[20:21], -v[92:93]
	v_add_f64_e64 v[70:71], v[22:23], -v[94:95]
	;; [unrolled: 1-line block ×12, first 2 shown]
	v_mul_lo_u16 v92, v124, 34
	v_mul_lo_u16 v93, v125, 34
	v_mul_u32_u24_e32 v94, 34, v13
	v_sub_nc_u16 v13, v0, v128
	v_sub_nc_u16 v128, v2, v129
	;; [unrolled: 1-line block ×6, first 2 shown]
	v_mad_u16 v92, v6, 34, v10
	v_fma_f64 v[5:6], v[48:49], 2.0, -v[36:37]
	v_fma_f64 v[7:8], v[50:51], 2.0, -v[38:39]
	v_sub_nc_u16 v133, v12, v93
	v_add_lshl_u32 v102, v126, v9, 4
	v_mad_u16 v93, v14, 34, v27
	v_mad_u16 v95, v15, 34, v28
	;; [unrolled: 1-line block ×5, first 2 shown]
	v_and_b32_e32 v126, 0xff, v13
	v_fma_f64 v[9:10], v[44:45], 2.0, -v[40:41]
	v_fma_f64 v[11:12], v[46:47], 2.0, -v[42:43]
	v_and_b32_e32 v101, 0xffff, v129
	v_and_b32_e32 v100, 0xffff, v128
	scratch_store_b32 off, v102, off offset:316 ; 4-byte Folded Spill
	v_lshlrev_b32_e32 v99, 4, v127
	v_fma_f64 v[20:21], v[20:21], 2.0, -v[68:69]
	v_fma_f64 v[22:23], v[22:23], 2.0, -v[70:71]
	;; [unrolled: 1-line block ×12, first 2 shown]
	v_add_lshl_u32 v63, v94, v4, 4
	v_and_b32_e32 v4, 0xffff, v92
	v_and_b32_e32 v53, 0xffff, v93
	;; [unrolled: 1-line block ×7, first 2 shown]
	v_lshlrev_b32_e32 v62, 4, v4
	v_lshlrev_b32_e32 v61, 4, v53
	;; [unrolled: 1-line block ×6, first 2 shown]
	v_and_b32_e32 v18, 0xffff, v131
	v_and_b32_e32 v19, 0xffff, v132
	ds_store_b128 v102, v[5:8]
	ds_store_b128 v102, v[36:39] offset:272
	ds_store_b128 v63, v[9:12]
	scratch_store_b32 off, v63, off offset:328 ; 4-byte Folded Spill
	ds_store_b128 v63, v[40:43] offset:272
	ds_store_b128 v62, v[20:23]
	scratch_store_b32 off, v62, off offset:324 ; 4-byte Folded Spill
	;; [unrolled: 3-line block ×7, first 2 shown]
	ds_store_b128 v4, v[88:91] offset:272
	v_lshlrev_b32_e32 v4, 4, v101
	v_lshlrev_b32_e32 v5, 4, v17
	v_and_b32_e32 v52, 0xffff, v133
	v_lshlrev_b32_e32 v58, 4, v126
	v_lshlrev_b32_e32 v59, 4, v100
	;; [unrolled: 1-line block ×3, first 2 shown]
	global_wb scope:SCOPE_SE
	s_wait_storecnt_dscnt 0x0
	s_barrier_signal -1
	s_barrier_wait -1
	global_inv scope:SCOPE_SE
	s_clause 0x1
	global_load_b128 v[64:67], v4, s[2:3] offset:272
	global_load_b128 v[60:63], v5, s[2:3] offset:272
	v_lshlrev_b32_e32 v4, 4, v19
	v_lshlrev_b32_e32 v5, 4, v52
	s_clause 0x5
	global_load_b128 v[102:105], v99, s[2:3] offset:272
	global_load_b128 v[98:101], v58, s[2:3] offset:272
	;; [unrolled: 1-line block ×6, first 2 shown]
	ds_load_b128 v[4:7], v110 offset:15232
	ds_load_b128 v[8:11], v110 offset:17136
	;; [unrolled: 1-line block ×8, first 2 shown]
	s_wait_loadcnt_dscnt 0x704
	v_mul_f64_e32 v[52:53], v[18:19], v[66:67]
	v_mul_f64_e32 v[54:55], v[16:17], v[66:67]
	s_wait_loadcnt_dscnt 0x603
	v_mul_f64_e32 v[56:57], v[22:23], v[62:63]
	v_mul_f64_e32 v[58:59], v[20:21], v[62:63]
	s_wait_loadcnt 0x5
	v_mul_f64_e32 v[40:41], v[6:7], v[104:105]
	v_mul_f64_e32 v[42:43], v[4:5], v[104:105]
	s_wait_loadcnt 0x4
	;; [unrolled: 3-line block ×3, first 2 shown]
	v_mul_f64_e32 v[48:49], v[14:15], v[96:97]
	v_mul_f64_e32 v[50:51], v[12:13], v[96:97]
	s_wait_loadcnt_dscnt 0x202
	v_mul_f64_e32 v[68:69], v[26:27], v[82:83]
	v_mul_f64_e32 v[70:71], v[24:25], v[82:83]
	s_wait_loadcnt_dscnt 0x101
	;; [unrolled: 3-line block ×3, first 2 shown]
	v_mul_f64_e32 v[88:89], v[38:39], v[74:75]
	v_mul_f64_e32 v[90:91], v[36:37], v[74:75]
	s_clause 0x5
	scratch_store_b128 off, v[102:105], off offset:252
	scratch_store_b128 off, v[76:79], off offset:540
	;; [unrolled: 1-line block ×6, first 2 shown]
	v_mad_u16 v62, 0x44, v125, v133
	v_fma_f64 v[96:97], v[16:17], v[64:65], -v[52:53]
	v_fma_f64 v[100:101], v[20:21], v[60:61], -v[56:57]
	v_fma_f64 v[40:41], v[4:5], v[102:103], -v[40:41]
	v_fma_f64 v[42:43], v[6:7], v[102:103], v[42:43]
	v_fma_f64 v[44:45], v[8:9], v[98:99], -v[44:45]
	v_fma_f64 v[46:47], v[10:11], v[98:99], v[46:47]
	v_fma_f64 v[92:93], v[12:13], v[94:95], -v[48:49]
	v_fma_f64 v[94:95], v[14:15], v[94:95], v[50:51]
	v_fma_f64 v[98:99], v[18:19], v[64:65], v[54:55]
	v_fma_f64 v[102:103], v[22:23], v[60:61], v[58:59]
	v_fma_f64 v[104:105], v[24:25], v[80:81], -v[68:69]
	v_fma_f64 v[106:107], v[26:27], v[80:81], v[70:71]
	v_fma_f64 v[111:112], v[28:29], v[76:77], -v[84:85]
	v_fma_f64 v[113:114], v[30:31], v[76:77], v[86:87]
	;; [unrolled: 2-line block ×3, first 2 shown]
	ds_load_b128 v[4:7], v110
	ds_load_b128 v[8:11], v110 offset:1904
	ds_load_b128 v[12:15], v110 offset:3808
	;; [unrolled: 1-line block ×7, first 2 shown]
	v_mul_lo_u16 v60, 0x44, v109
	v_and_b32_e32 v61, 0xffff, v119
	global_wb scope:SCOPE_SE
	s_wait_storecnt_dscnt 0x0
	s_barrier_signal -1
	s_barrier_wait -1
	v_and_b32_e32 v60, 0xfc, v60
	v_mul_u32_u24_e32 v61, 0x44, v61
	global_inv scope:SCOPE_SE
	v_add_lshl_u32 v63, v60, v127, 4
	v_mad_u16 v60, 0x44, v124, v132
	v_add_lshl_u32 v66, v61, v126, 4
	v_and_b32_e32 v61, 0xffff, v62
	scratch_store_b32 off, v63, off offset:224 ; 4-byte Folded Spill
	v_and_b32_e32 v60, 0xffff, v60
	v_add_f64_e64 v[56:57], v[16:17], -v[96:97]
	v_add_f64_e64 v[68:69], v[20:21], -v[100:101]
	;; [unrolled: 1-line block ×16, first 2 shown]
                                        ; implicit-def: $vgpr112_vgpr113
                                        ; implicit-def: $vgpr116_vgpr117
	v_fma_f64 v[92:93], v[16:17], 2.0, -v[56:57]
	v_fma_f64 v[20:21], v[20:21], 2.0, -v[68:69]
	;; [unrolled: 1-line block ×16, first 2 shown]
	v_mad_u16 v36, 0x44, v120, v128
	v_mad_u16 v37, 0x44, v121, v129
	;; [unrolled: 1-line block ×4, first 2 shown]
	s_delay_alu instid0(VALU_DEP_4) | instskip(NEXT) | instid1(VALU_DEP_4)
	v_and_b32_e32 v36, 0xffff, v36
	v_and_b32_e32 v37, 0xffff, v37
	s_delay_alu instid0(VALU_DEP_4) | instskip(NEXT) | instid1(VALU_DEP_4)
	v_and_b32_e32 v38, 0xffff, v38
	v_and_b32_e32 v39, 0xffff, v39
	s_delay_alu instid0(VALU_DEP_4) | instskip(NEXT) | instid1(VALU_DEP_4)
	v_lshlrev_b32_e32 v65, 4, v36
	v_lshlrev_b32_e32 v64, 4, v37
	s_delay_alu instid0(VALU_DEP_4) | instskip(NEXT) | instid1(VALU_DEP_4)
	v_lshlrev_b32_e32 v62, 4, v38
	v_lshlrev_b32_e32 v38, 4, v39
	;; [unrolled: 1-line block ×4, first 2 shown]
	ds_store_b128 v63, v[4:7]
	ds_store_b128 v63, v[40:43] offset:544
	ds_store_b128 v66, v[8:11]
	scratch_store_b32 off, v66, off offset:280 ; 4-byte Folded Spill
	ds_store_b128 v66, v[48:51] offset:544
	ds_store_b128 v65, v[12:15]
	scratch_store_b32 off, v65, off offset:276 ; 4-byte Folded Spill
	;; [unrolled: 3-line block ×7, first 2 shown]
	ds_store_b128 v36, v[44:47] offset:544
	global_wb scope:SCOPE_SE
	s_wait_storecnt_dscnt 0x0
	s_barrier_signal -1
	s_barrier_wait -1
	global_inv scope:SCOPE_SE
	ds_load_b128 v[140:143], v110
	ds_load_b128 v[136:139], v110 offset:1904
	ds_load_b128 v[104:107], v110 offset:4352
	;; [unrolled: 1-line block ×13, first 2 shown]
	s_and_saveexec_b32 s1, s0
	s_cbranch_execz .LBB0_9
; %bb.8:
	ds_load_b128 v[16:19], v110 offset:3808
	ds_load_b128 v[44:47], v110 offset:8160
	;; [unrolled: 1-line block ×7, first 2 shown]
.LBB0_9:
	s_wait_alu 0xfffe
	s_or_b32 exec_lo, exec_lo, s1
	v_add_nc_u32_e32 v4, 0xffffffbc, v246
	v_cmp_gt_u16_e64 s1, 0x44, v246
	v_lshrrev_b32_e32 v3, 22, v3
	v_mul_lo_u16 v1, 0x79, v1
	s_mov_b32 s18, 0x429ad128
	s_mov_b32 s26, 0x37e14327
	s_wait_alu 0xf1ff
	v_cndmask_b32_e64 v109, v4, v246, s1
	v_mul_lo_u16 v3, 0x44, v3
	v_lshrrev_b16 v111, 13, v1
	s_mov_b32 s19, 0x3febfeb5
	s_mov_b32 s27, 0x3fe948f6
	v_mul_i32_i24_e32 v4, 0x60, v109
	v_mul_hi_i32_i24_e32 v5, 0x60, v109
	v_sub_nc_u16 v164, v2, v3
	v_mul_lo_u16 v1, 0x44, v111
	s_mov_b32 s20, 0xaaaaaaaa
	v_add_co_u32 v4, s1, s2, v4
	s_wait_alu 0xf1ff
	v_add_co_ci_u32_e64 v5, s1, s3, v5, s1
	v_mul_lo_u16 v2, 0x60, v164
	v_sub_nc_u16 v0, v0, v1
	s_clause 0x1
	global_load_b128 v[8:11], v[4:5], off offset:816
	global_load_b128 v[12:15], v[4:5], off offset:832
	s_mov_b32 s10, 0x36b3c0b5
	v_and_b32_e32 v2, 0xffff, v2
	v_and_b32_e32 v165, 0xff, v0
	s_mov_b32 s24, 0xe976ee23
	s_mov_b32 s22, 0x5476071b
	;; [unrolled: 1-line block ×3, first 2 shown]
	v_add_co_u32 v2, s1, s2, v2
	s_wait_alu 0xf1ff
	v_add_co_ci_u32_e64 v3, null, s3, 0, s1
	s_mov_b32 s21, 0xbff2aaaa
	s_mov_b32 s11, 0x3fac98ee
	;; [unrolled: 1-line block ×7, first 2 shown]
	s_wait_alu 0xfffe
	s_mov_b32 s30, s16
	s_mov_b32 s28, s22
	;; [unrolled: 1-line block ×4, first 2 shown]
	v_cmp_lt_u16_e64 s1, 0x43, v246
	s_wait_loadcnt_dscnt 0x10b
	v_mul_f64_e32 v[6:7], v[106:107], v[10:11]
	scratch_store_b128 off, v[8:11], off offset:284 ; 16-byte Folded Spill
	s_wait_loadcnt 0x0
	scratch_store_b128 off, v[12:15], off offset:332 ; 16-byte Folded Spill
	v_fma_f64 v[36:37], v[104:105], v[8:9], -v[6:7]
	v_mul_f64_e32 v[6:7], v[104:105], v[10:11]
	s_delay_alu instid0(VALU_DEP_1) | instskip(SKIP_2) | instid1(VALU_DEP_1)
	v_fma_f64 v[38:39], v[106:107], v[8:9], v[6:7]
	s_wait_dscnt 0x9
	v_mul_f64_e32 v[6:7], v[102:103], v[14:15]
	v_fma_f64 v[40:41], v[100:101], v[12:13], -v[6:7]
	v_mul_f64_e32 v[6:7], v[100:101], v[14:15]
	s_delay_alu instid0(VALU_DEP_1)
	v_fma_f64 v[42:43], v[102:103], v[12:13], v[6:7]
	s_clause 0x1
	global_load_b128 v[8:11], v[4:5], off offset:896
	global_load_b128 v[12:15], v[4:5], off offset:880
	s_wait_loadcnt_dscnt 0x101
	v_mul_f64_e32 v[6:7], v[98:99], v[10:11]
	scratch_store_b128 off, v[8:11], off offset:364 ; 16-byte Folded Spill
	s_wait_loadcnt 0x0
	scratch_store_b128 off, v[12:15], off offset:396 ; 16-byte Folded Spill
	v_fma_f64 v[52:53], v[96:97], v[8:9], -v[6:7]
	v_mul_f64_e32 v[6:7], v[96:97], v[10:11]
	s_delay_alu instid0(VALU_DEP_1) | instskip(SKIP_1) | instid1(VALU_DEP_2)
	v_fma_f64 v[54:55], v[98:99], v[8:9], v[6:7]
	v_mul_f64_e32 v[6:7], v[70:71], v[14:15]
	v_add_f64_e32 v[166:167], v[38:39], v[54:55]
	s_delay_alu instid0(VALU_DEP_2) | instskip(SKIP_2) | instid1(VALU_DEP_2)
	v_fma_f64 v[56:57], v[68:69], v[12:13], -v[6:7]
	v_mul_f64_e32 v[6:7], v[68:69], v[14:15]
	v_add_f64_e64 v[54:55], v[38:39], -v[54:55]
	v_fma_f64 v[58:59], v[70:71], v[12:13], v[6:7]
	s_clause 0x1
	global_load_b128 v[6:9], v[4:5], off offset:848
	global_load_b128 v[10:13], v[4:5], off offset:864
	v_add_f64_e32 v[168:169], v[42:43], v[58:59]
	v_add_f64_e64 v[42:43], v[42:43], -v[58:59]
	s_delay_alu instid0(VALU_DEP_2)
	v_add_f64_e32 v[172:173], v[168:169], v[166:167]
	s_wait_loadcnt 0x1
	v_mul_f64_e32 v[4:5], v[50:51], v[8:9]
	scratch_store_b128 off, v[6:9], off offset:348 ; 16-byte Folded Spill
	s_wait_loadcnt 0x0
	scratch_store_b128 off, v[10:13], off offset:380 ; 16-byte Folded Spill
	v_fma_f64 v[70:71], v[48:49], v[6:7], -v[4:5]
	v_mul_f64_e32 v[4:5], v[48:49], v[8:9]
	s_delay_alu instid0(VALU_DEP_1) | instskip(SKIP_4) | instid1(VALU_DEP_1)
	v_fma_f64 v[68:69], v[50:51], v[6:7], v[4:5]
	s_clause 0x1
	global_load_b128 v[104:107], v[2:3], off offset:816
	global_load_b128 v[6:9], v[2:3], off offset:832
	v_mul_f64_e32 v[4:5], v[22:23], v[12:13]
	v_fma_f64 v[162:163], v[20:21], v[10:11], -v[4:5]
	v_mul_f64_e32 v[4:5], v[20:21], v[12:13]
	s_delay_alu instid0(VALU_DEP_1) | instskip(NEXT) | instid1(VALU_DEP_1)
	v_fma_f64 v[160:161], v[22:23], v[10:11], v[4:5]
	v_add_f64_e32 v[170:171], v[68:69], v[160:161]
	v_add_f64_e64 v[58:59], v[160:161], -v[68:69]
	s_delay_alu instid0(VALU_DEP_2) | instskip(SKIP_1) | instid1(VALU_DEP_1)
	v_add_f64_e64 v[160:161], v[170:171], -v[168:169]
	v_add_f64_e32 v[172:173], v[170:171], v[172:173]
	v_add_f64_e32 v[142:143], v[142:143], v[172:173]
	s_delay_alu instid0(VALU_DEP_1)
	v_fma_f64 v[172:173], v[172:173], s[20:21], v[142:143]
	s_wait_loadcnt 0x1
	v_mul_f64_e32 v[4:5], v[46:47], v[106:107]
	s_wait_loadcnt 0x0
	scratch_store_b128 off, v[6:9], off offset:564 ; 16-byte Folded Spill
	v_fma_f64 v[12:13], v[44:45], v[104:105], -v[4:5]
	v_mul_f64_e32 v[4:5], v[44:45], v[106:107]
	v_mad_co_u64_u32 v[44:45], null, 0x60, v165, s[2:3]
	s_delay_alu instid0(VALU_DEP_2) | instskip(SKIP_1) | instid1(VALU_DEP_1)
	v_fma_f64 v[14:15], v[46:47], v[104:105], v[4:5]
	v_mul_f64_e32 v[4:5], v[34:35], v[8:9]
	v_fma_f64 v[24:25], v[32:33], v[6:7], -v[4:5]
	v_mul_f64_e32 v[4:5], v[32:33], v[8:9]
	s_delay_alu instid0(VALU_DEP_1)
	v_fma_f64 v[26:27], v[34:35], v[6:7], v[4:5]
	s_clause 0x1
	global_load_b128 v[6:9], v[2:3], off offset:896
	global_load_b128 v[20:23], v[2:3], off offset:880
	s_wait_loadcnt_dscnt 0x100
	v_mul_f64_e32 v[4:5], v[158:159], v[8:9]
	scratch_store_b128 off, v[6:9], off offset:580 ; 16-byte Folded Spill
	s_wait_loadcnt 0x0
	scratch_store_b128 off, v[20:23], off offset:596 ; 16-byte Folded Spill
	v_fma_f64 v[28:29], v[156:157], v[6:7], -v[4:5]
	v_mul_f64_e32 v[4:5], v[156:157], v[8:9]
	s_delay_alu instid0(VALU_DEP_2) | instskip(NEXT) | instid1(VALU_DEP_2)
	v_add_f64_e32 v[174:175], v[12:13], v[28:29]
	v_fma_f64 v[30:31], v[158:159], v[6:7], v[4:5]
	v_mul_f64_e32 v[4:5], v[154:155], v[22:23]
	v_add_f64_e64 v[12:13], v[12:13], -v[28:29]
	s_delay_alu instid0(VALU_DEP_3) | instskip(NEXT) | instid1(VALU_DEP_3)
	v_add_f64_e32 v[182:183], v[14:15], v[30:31]
	v_fma_f64 v[32:33], v[152:153], v[20:21], -v[4:5]
	v_mul_f64_e32 v[4:5], v[152:153], v[22:23]
	v_add_f64_e64 v[14:15], v[14:15], -v[30:31]
	s_delay_alu instid0(VALU_DEP_3) | instskip(NEXT) | instid1(VALU_DEP_3)
	v_add_f64_e32 v[176:177], v[24:25], v[32:33]
	v_fma_f64 v[34:35], v[154:155], v[20:21], v[4:5]
	s_clause 0x1
	global_load_b128 v[4:7], v[2:3], off offset:848
	global_load_b128 v[8:11], v[2:3], off offset:864
	v_add_f64_e64 v[24:25], v[24:25], -v[32:33]
	v_add_f64_e32 v[180:181], v[176:177], v[174:175]
	v_add_f64_e32 v[184:185], v[26:27], v[34:35]
	v_add_f64_e64 v[26:27], v[26:27], -v[34:35]
	v_add_f64_e64 v[30:31], v[176:177], -v[174:175]
	s_delay_alu instid0(VALU_DEP_3)
	v_add_f64_e32 v[188:189], v[184:185], v[182:183]
	s_wait_loadcnt 0x1
	v_mul_f64_e32 v[2:3], v[114:115], v[6:7]
	scratch_store_b128 off, v[4:7], off offset:612 ; 16-byte Folded Spill
	s_wait_loadcnt 0x0
	scratch_store_b128 off, v[8:11], off offset:628 ; 16-byte Folded Spill
	v_fma_f64 v[154:155], v[112:113], v[4:5], -v[2:3]
	v_mul_f64_e32 v[2:3], v[112:113], v[6:7]
	s_delay_alu instid0(VALU_DEP_1) | instskip(SKIP_1) | instid1(VALU_DEP_1)
	v_fma_f64 v[152:153], v[114:115], v[4:5], v[2:3]
	v_mul_f64_e32 v[2:3], v[118:119], v[10:11]
	v_fma_f64 v[158:159], v[116:117], v[8:9], -v[2:3]
	v_mul_f64_e32 v[2:3], v[116:117], v[10:11]
	s_delay_alu instid0(VALU_DEP_2) | instskip(NEXT) | instid1(VALU_DEP_2)
	v_add_f64_e32 v[178:179], v[154:155], v[158:159]
	v_fma_f64 v[156:157], v[118:119], v[8:9], v[2:3]
	s_clause 0x1
	global_load_b128 v[4:7], v[44:45], off offset:816
	global_load_b128 v[8:11], v[44:45], off offset:832
	v_add_f64_e64 v[32:33], v[158:159], -v[154:155]
	v_add_f64_e32 v[180:181], v[178:179], v[180:181]
	v_add_f64_e32 v[186:187], v[152:153], v[156:157]
	v_add_f64_e64 v[28:29], v[156:157], -v[152:153]
	v_add_f64_e64 v[34:35], v[178:179], -v[176:177]
	;; [unrolled: 1-line block ×3, first 2 shown]
	v_add_f64_e32 v[152:153], v[32:33], v[24:25]
	v_add_f64_e64 v[24:25], v[24:25], -v[12:13]
	v_add_f64_e64 v[32:33], v[12:13], -v[32:33]
	v_add_f64_e32 v[16:17], v[16:17], v[180:181]
	v_add_f64_e32 v[188:189], v[186:187], v[188:189]
	v_add_f64_e64 v[156:157], v[28:29], -v[26:27]
	v_add_f64_e32 v[158:159], v[28:29], v[26:27]
	v_add_f64_e64 v[26:27], v[26:27], -v[14:15]
	v_mul_f64_e32 v[154:155], s[24:25], v[154:155]
	v_add_f64_e32 v[152:153], v[152:153], v[12:13]
	v_mul_f64_e32 v[12:13], s[18:19], v[24:25]
	v_add_f64_e64 v[28:29], v[14:15], -v[28:29]
	v_add_f64_e32 v[18:19], v[18:19], v[188:189]
	v_mul_f64_e32 v[156:157], s[24:25], v[156:157]
	v_add_f64_e32 v[158:159], v[158:159], v[14:15]
	v_mul_f64_e32 v[14:15], s[18:19], v[26:27]
	s_wait_alu 0xfffe
	v_fma_f64 v[12:13], v[32:33], s[30:31], -v[12:13]
	s_delay_alu instid0(VALU_DEP_2) | instskip(NEXT) | instid1(VALU_DEP_2)
	v_fma_f64 v[14:15], v[28:29], s[30:31], -v[14:15]
	v_fma_f64 v[12:13], v[152:153], s[14:15], v[12:13]
	s_delay_alu instid0(VALU_DEP_2)
	v_fma_f64 v[14:15], v[158:159], s[14:15], v[14:15]
	s_wait_loadcnt 0x1
	scratch_store_b128 off, v[4:7], off offset:412 ; 16-byte Folded Spill
	s_wait_loadcnt 0x0
	scratch_store_b128 off, v[8:11], off offset:428 ; 16-byte Folded Spill
	s_clause 0x1
	global_load_b128 v[20:23], v[44:45], off offset:896
	global_load_b128 v[46:49], v[44:45], off offset:880
	v_mul_f64_e32 v[0:1], v[130:131], v[6:7]
	s_delay_alu instid0(VALU_DEP_1) | instskip(SKIP_1) | instid1(VALU_DEP_1)
	v_fma_f64 v[2:3], v[128:129], v[4:5], -v[0:1]
	v_mul_f64_e32 v[0:1], v[128:129], v[6:7]
	v_fma_f64 v[0:1], v[130:131], v[4:5], v[0:1]
	v_mul_f64_e32 v[4:5], v[126:127], v[10:11]
	s_delay_alu instid0(VALU_DEP_1) | instskip(SKIP_1) | instid1(VALU_DEP_1)
	v_fma_f64 v[6:7], v[124:125], v[8:9], -v[4:5]
	v_mul_f64_e32 v[4:5], v[124:125], v[10:11]
	v_fma_f64 v[4:5], v[126:127], v[8:9], v[4:5]
	s_wait_loadcnt 0x1
	v_mul_f64_e32 v[8:9], v[134:135], v[22:23]
	scratch_store_b128 off, v[20:23], off offset:460 ; 16-byte Folded Spill
	s_wait_loadcnt 0x0
	scratch_store_b128 off, v[46:49], off offset:476 ; 16-byte Folded Spill
	v_fma_f64 v[10:11], v[132:133], v[20:21], -v[8:9]
	v_mul_f64_e32 v[8:9], v[132:133], v[22:23]
	s_delay_alu instid0(VALU_DEP_2) | instskip(NEXT) | instid1(VALU_DEP_2)
	v_add_f64_e32 v[190:191], v[2:3], v[10:11]
	v_fma_f64 v[8:9], v[134:135], v[20:21], v[8:9]
	v_mul_f64_e32 v[20:21], v[122:123], v[48:49]
	v_add_f64_e64 v[10:11], v[2:3], -v[10:11]
	s_delay_alu instid0(VALU_DEP_3) | instskip(NEXT) | instid1(VALU_DEP_3)
	v_add_f64_e32 v[198:199], v[0:1], v[8:9]
	v_fma_f64 v[22:23], v[120:121], v[46:47], -v[20:21]
	v_mul_f64_e32 v[20:21], v[120:121], v[48:49]
	s_clause 0x1
	global_load_b128 v[48:51], v[44:45], off offset:848
	global_load_b128 v[60:63], v[44:45], off offset:864
	v_add_f64_e64 v[8:9], v[0:1], -v[8:9]
	v_add_f64_e32 v[192:193], v[6:7], v[22:23]
	v_fma_f64 v[20:21], v[122:123], v[46:47], v[20:21]
	v_add_f64_e64 v[6:7], v[6:7], -v[22:23]
	s_delay_alu instid0(VALU_DEP_3) | instskip(NEXT) | instid1(VALU_DEP_3)
	v_add_f64_e32 v[196:197], v[192:193], v[190:191]
	v_add_f64_e32 v[200:201], v[4:5], v[20:21]
	v_add_f64_e64 v[2:3], v[4:5], -v[20:21]
	s_delay_alu instid0(VALU_DEP_4) | instskip(SKIP_1) | instid1(VALU_DEP_4)
	v_add_f64_e64 v[20:21], v[6:7], -v[10:11]
	v_add_f64_e64 v[22:23], v[192:193], -v[190:191]
	v_add_f64_e32 v[204:205], v[200:201], v[198:199]
	s_wait_loadcnt 0x1
	v_mul_f64_e32 v[44:45], v[150:151], v[50:51]
	scratch_store_b128 off, v[48:51], off offset:444 ; 16-byte Folded Spill
	s_wait_loadcnt 0x0
	scratch_store_b128 off, v[60:63], off offset:492 ; 16-byte Folded Spill
	v_fma_f64 v[46:47], v[148:149], v[48:49], -v[44:45]
	v_mul_f64_e32 v[44:45], v[148:149], v[50:51]
	v_add_f64_e32 v[148:149], v[70:71], v[162:163]
	s_delay_alu instid0(VALU_DEP_2) | instskip(SKIP_1) | instid1(VALU_DEP_1)
	v_fma_f64 v[44:45], v[150:151], v[48:49], v[44:45]
	v_mul_f64_e32 v[48:49], v[146:147], v[62:63]
	v_fma_f64 v[50:51], v[144:145], v[60:61], -v[48:49]
	v_mul_f64_e32 v[48:49], v[144:145], v[62:63]
	v_add_f64_e32 v[144:145], v[36:37], v[52:53]
	v_add_f64_e64 v[52:53], v[36:37], -v[52:53]
	s_delay_alu instid0(VALU_DEP_4) | instskip(NEXT) | instid1(VALU_DEP_4)
	v_add_f64_e32 v[194:195], v[46:47], v[50:51]
	v_fma_f64 v[48:49], v[146:147], v[60:61], v[48:49]
	v_add_f64_e32 v[146:147], v[40:41], v[56:57]
	v_add_f64_e64 v[40:41], v[40:41], -v[56:57]
	v_add_f64_e64 v[56:57], v[162:163], -v[70:71]
	v_add_f64_e32 v[196:197], v[194:195], v[196:197]
	v_add_f64_e32 v[202:203], v[44:45], v[48:49]
	;; [unrolled: 1-line block ×3, first 2 shown]
	v_add_f64_e64 v[68:69], v[146:147], -v[144:145]
	v_add_f64_e64 v[70:71], v[148:149], -v[146:147]
	;; [unrolled: 1-line block ×3, first 2 shown]
	v_add_f64_e32 v[168:169], v[58:59], v[42:43]
	v_add_f64_e64 v[144:145], v[144:145], -v[148:149]
	v_add_f64_e32 v[36:37], v[56:57], v[40:41]
	v_add_f64_e64 v[38:39], v[56:57], -v[40:41]
	v_add_f64_e64 v[162:163], v[40:41], -v[52:53]
	;; [unrolled: 1-line block ×3, first 2 shown]
	v_add_f64_e32 v[136:137], v[136:137], v[196:197]
	v_add_f64_e32 v[208:209], v[202:203], v[204:205]
	;; [unrolled: 1-line block ×3, first 2 shown]
	v_add_f64_e64 v[204:205], v[42:43], -v[54:55]
	v_add_f64_e64 v[148:149], v[166:167], -v[170:171]
	;; [unrolled: 1-line block ×3, first 2 shown]
	v_add_f64_e32 v[168:169], v[168:169], v[54:55]
	v_mul_f64_e32 v[144:145], s[26:27], v[144:145]
	v_add_f64_e32 v[212:213], v[36:37], v[52:53]
	v_mul_f64_e32 v[206:207], s[24:25], v[38:39]
	v_mul_f64_e32 v[38:39], s[10:11], v[160:161]
	v_add_f64_e64 v[166:167], v[52:53], -v[56:57]
	v_mul_f64_e32 v[52:53], s[18:19], v[162:163]
	v_mul_f64_e32 v[210:211], s[24:25], v[40:41]
	;; [unrolled: 1-line block ×3, first 2 shown]
	v_add_f64_e32 v[138:139], v[138:139], v[208:209]
	v_add_f64_e32 v[140:141], v[140:141], v[150:151]
	v_mul_f64_e32 v[54:55], s[18:19], v[204:205]
	v_mul_f64_e32 v[148:149], s[26:27], v[148:149]
	v_fma_f64 v[56:57], v[68:69], s[28:29], -v[144:145]
	v_fma_f64 v[70:71], v[70:71], s[10:11], v[144:145]
	v_fma_f64 v[40:41], v[162:163], s[18:19], -v[206:207]
	v_fma_f64 v[38:39], v[146:147], s[22:23], -v[38:39]
	;; [unrolled: 1-line block ×4, first 2 shown]
	v_fma_f64 v[150:151], v[150:151], s[20:21], v[140:141]
	v_fma_f64 v[54:55], v[170:171], s[30:31], -v[54:55]
	v_fma_f64 v[58:59], v[146:147], s[28:29], -v[148:149]
	v_fma_f64 v[144:145], v[160:161], s[10:11], v[148:149]
	v_fma_f64 v[42:43], v[212:213], s[14:15], v[40:41]
	v_fma_f64 v[40:41], v[204:205], s[18:19], -v[210:211]
	v_add_f64_e32 v[216:217], v[38:39], v[172:173]
	v_fma_f64 v[68:69], v[212:213], s[14:15], v[52:53]
	v_add_f64_e32 v[56:57], v[56:57], v[150:151]
	v_fma_f64 v[146:147], v[168:169], s[14:15], v[54:55]
	v_add_f64_e32 v[58:59], v[58:59], v[172:173]
	v_add_f64_e32 v[214:215], v[36:37], v[150:151]
	v_add_f64_e32 v[150:151], v[70:71], v[150:151]
	v_add_f64_e32 v[160:161], v[144:145], v[172:173]
	v_fma_f64 v[172:173], v[26:27], s[18:19], -v[156:157]
	v_fma_f64 v[40:41], v[168:169], s[14:15], v[40:41]
	v_add_f64_e32 v[38:39], v[42:43], v[216:217]
	v_add_f64_e64 v[42:43], v[216:217], -v[42:43]
	v_add_f64_e32 v[52:53], v[146:147], v[56:57]
	v_add_f64_e64 v[56:57], v[56:57], -v[146:147]
	v_fma_f64 v[146:147], v[170:171], s[16:17], v[210:211]
	v_add_f64_e64 v[54:55], v[58:59], -v[68:69]
	v_add_f64_e32 v[58:59], v[68:69], v[58:59]
	v_fma_f64 v[68:69], v[166:167], s[16:17], v[206:207]
	v_fma_f64 v[166:167], v[180:181], s[20:21], v[16:17]
	v_fma_f64 v[170:171], v[24:25], s[18:19], -v[154:155]
	v_fma_f64 v[172:173], v[158:159], s[14:15], v[172:173]
	v_add_f64_e64 v[36:37], v[214:215], -v[40:41]
	v_add_f64_e32 v[40:41], v[40:41], v[214:215]
	v_fma_f64 v[146:147], v[168:169], s[14:15], v[146:147]
	v_fma_f64 v[168:169], v[188:189], s[20:21], v[18:19]
	;; [unrolled: 1-line block ×4, first 2 shown]
	s_delay_alu instid0(VALU_DEP_4)
	v_add_f64_e32 v[68:69], v[146:147], v[150:151]
	v_add_f64_e64 v[144:145], v[150:151], -v[146:147]
	v_add_f64_e64 v[150:151], v[186:187], -v[184:185]
	;; [unrolled: 1-line block ×3, first 2 shown]
	v_add_f64_e32 v[146:147], v[148:149], v[160:161]
	v_add_f64_e64 v[148:149], v[184:185], -v[182:183]
	v_mul_f64_e32 v[160:161], s[10:11], v[34:35]
	v_mul_f64_e32 v[162:163], s[10:11], v[150:151]
	s_delay_alu instid0(VALU_DEP_2) | instskip(NEXT) | instid1(VALU_DEP_2)
	v_fma_f64 v[160:161], v[30:31], s[22:23], -v[160:161]
	v_fma_f64 v[162:163], v[148:149], s[22:23], -v[162:163]
	s_delay_alu instid0(VALU_DEP_2) | instskip(NEXT) | instid1(VALU_DEP_2)
	v_add_f64_e32 v[160:161], v[160:161], v[166:167]
	v_add_f64_e32 v[162:163], v[162:163], v[168:169]
	s_delay_alu instid0(VALU_DEP_2) | instskip(NEXT) | instid1(VALU_DEP_2)
	v_add_f64_e64 v[60:61], v[160:161], -v[172:173]
	v_add_f64_e32 v[62:63], v[170:171], v[162:163]
	scratch_store_b128 off, v[60:63], off offset:12 ; 16-byte Folded Spill
	v_add_f64_e64 v[62:63], v[162:163], -v[170:171]
	v_add_f64_e64 v[162:163], v[182:183], -v[186:187]
	v_add_f64_e32 v[60:61], v[172:173], v[160:161]
	v_add_f64_e64 v[160:161], v[174:175], -v[178:179]
	v_fma_f64 v[170:171], v[196:197], s[20:21], v[136:137]
	v_fma_f64 v[172:173], v[208:209], s[20:21], v[138:139]
	v_mul_f64_e32 v[162:163], s[26:27], v[162:163]
	scratch_store_b128 off, v[60:63], off offset:28 ; 16-byte Folded Spill
	v_mul_f64_e32 v[160:161], s[26:27], v[160:161]
	global_wb scope:SCOPE_SE
	s_wait_storecnt 0x0
	s_barrier_signal -1
	s_barrier_wait -1
	global_inv scope:SCOPE_SE
	v_fma_f64 v[26:27], v[148:149], s[28:29], -v[162:163]
	v_fma_f64 v[24:25], v[30:31], s[28:29], -v[160:161]
	v_add_f64_e64 v[30:31], v[2:3], -v[8:9]
	s_delay_alu instid0(VALU_DEP_3) | instskip(NEXT) | instid1(VALU_DEP_3)
	v_add_f64_e32 v[26:27], v[26:27], v[168:169]
	v_add_f64_e32 v[24:25], v[24:25], v[166:167]
	s_delay_alu instid0(VALU_DEP_2) | instskip(SKIP_2) | instid1(VALU_DEP_4)
	v_add_f64_e64 v[206:207], v[26:27], -v[12:13]
	v_add_f64_e32 v[186:187], v[12:13], v[26:27]
	v_add_f64_e64 v[12:13], v[50:51], -v[46:47]
	v_add_f64_e32 v[204:205], v[14:15], v[24:25]
	v_add_f64_e64 v[184:185], v[24:25], -v[14:15]
	v_add_f64_e64 v[14:15], v[48:49], -v[44:45]
	;; [unrolled: 1-line block ×6, first 2 shown]
	v_add_f64_e32 v[4:5], v[12:13], v[6:7]
	v_add_f64_e64 v[178:179], v[10:11], -v[12:13]
	v_add_f64_e64 v[6:7], v[14:15], -v[2:3]
	v_add_f64_e32 v[26:27], v[14:15], v[2:3]
	v_mul_f64_e32 v[2:3], s[10:11], v[46:47]
	v_add_f64_e64 v[180:181], v[8:9], -v[14:15]
	v_mul_f64_e32 v[48:49], s[24:25], v[0:1]
	v_add_f64_e32 v[148:149], v[4:5], v[10:11]
	v_mul_f64_e32 v[0:1], s[10:11], v[24:25]
	v_mul_f64_e32 v[50:51], s[24:25], v[6:7]
	v_add_f64_e32 v[26:27], v[26:27], v[8:9]
	v_fma_f64 v[2:3], v[44:45], s[22:23], -v[2:3]
	v_mul_f64_e32 v[8:9], s[18:19], v[20:21]
	v_mul_f64_e32 v[10:11], s[18:19], v[30:31]
	v_fma_f64 v[4:5], v[20:21], s[18:19], -v[48:49]
	v_fma_f64 v[0:1], v[22:23], s[22:23], -v[0:1]
	v_add_f64_e32 v[176:177], v[2:3], v[172:173]
	v_fma_f64 v[8:9], v[178:179], s[30:31], -v[8:9]
	v_fma_f64 v[10:11], v[180:181], s[30:31], -v[10:11]
	v_fma_f64 v[6:7], v[148:149], s[14:15], v[4:5]
	v_fma_f64 v[4:5], v[30:31], s[18:19], -v[50:51]
	v_add_f64_e32 v[174:175], v[0:1], v[170:171]
	s_delay_alu instid0(VALU_DEP_3) | instskip(NEXT) | instid1(VALU_DEP_3)
	v_add_f64_e32 v[2:3], v[6:7], v[176:177]
	v_fma_f64 v[4:5], v[26:27], s[14:15], v[4:5]
	v_add_f64_e64 v[6:7], v[176:177], -v[6:7]
	v_add_f64_e64 v[176:177], v[198:199], -v[202:203]
	s_delay_alu instid0(VALU_DEP_3) | instskip(SKIP_2) | instid1(VALU_DEP_4)
	v_add_f64_e64 v[0:1], v[174:175], -v[4:5]
	v_add_f64_e32 v[4:5], v[4:5], v[174:175]
	v_add_f64_e64 v[174:175], v[190:191], -v[194:195]
	v_mul_f64_e32 v[30:31], s[26:27], v[176:177]
	s_delay_alu instid0(VALU_DEP_2) | instskip(NEXT) | instid1(VALU_DEP_2)
	v_mul_f64_e32 v[20:21], s[26:27], v[174:175]
	v_fma_f64 v[14:15], v[44:45], s[28:29], -v[30:31]
	v_fma_f64 v[44:45], v[26:27], s[14:15], v[10:11]
	s_delay_alu instid0(VALU_DEP_3) | instskip(SKIP_1) | instid1(VALU_DEP_4)
	v_fma_f64 v[12:13], v[22:23], s[28:29], -v[20:21]
	v_fma_f64 v[22:23], v[148:149], s[14:15], v[8:9]
	v_add_f64_e32 v[14:15], v[14:15], v[172:173]
	v_fma_f64 v[20:21], v[24:25], s[10:11], v[20:21]
	v_fma_f64 v[24:25], v[46:47], s[10:11], v[30:31]
	v_add_f64_e32 v[12:13], v[12:13], v[170:171]
	s_delay_alu instid0(VALU_DEP_4)
	v_add_f64_e64 v[10:11], v[14:15], -v[22:23]
	v_add_f64_e32 v[14:15], v[22:23], v[14:15]
	v_fma_f64 v[22:23], v[178:179], s[16:17], v[48:49]
	v_add_f64_e32 v[46:47], v[24:25], v[172:173]
	v_add_f64_e32 v[8:9], v[44:45], v[12:13]
	v_add_f64_e64 v[12:13], v[12:13], -v[44:45]
	v_fma_f64 v[44:45], v[180:181], s[16:17], v[50:51]
	v_fma_f64 v[30:31], v[148:149], s[14:15], v[22:23]
	s_delay_alu instid0(VALU_DEP_2) | instskip(SKIP_1) | instid1(VALU_DEP_3)
	v_fma_f64 v[26:27], v[26:27], s[14:15], v[44:45]
	v_add_f64_e32 v[44:45], v[20:21], v[170:171]
	v_add_f64_e64 v[22:23], v[46:47], -v[30:31]
	s_delay_alu instid0(VALU_DEP_2) | instskip(SKIP_4) | instid1(VALU_DEP_1)
	v_add_f64_e32 v[20:21], v[26:27], v[44:45]
	v_add_f64_e64 v[24:25], v[44:45], -v[26:27]
	v_add_f64_e32 v[26:27], v[30:31], v[46:47]
	s_wait_alu 0xf1ff
	v_cndmask_b32_e64 v30, 0, 0x1dc, s1
	v_add_lshl_u32 v109, v109, v30, 4
	v_and_b32_e32 v30, 0xffff, v111
	ds_store_b128 v109, v[140:143]
	ds_store_b128 v109, v[68:71] offset:1088
	ds_store_b128 v109, v[52:55] offset:2176
	;; [unrolled: 1-line block ×6, first 2 shown]
	v_mul_u32_u24_e32 v30, 0x1dc, v30
	v_and_b32_e32 v111, 0xffff, v164
	s_delay_alu instid0(VALU_DEP_2)
	v_add_lshl_u32 v112, v30, v165, 4
	ds_store_b128 v112, v[136:139]
	ds_store_b128 v112, v[20:23] offset:1088
	ds_store_b128 v112, v[8:11] offset:2176
	ds_store_b128 v112, v[0:3] offset:3264
	ds_store_b128 v112, v[4:7] offset:4352
	ds_store_b128 v112, v[12:15] offset:5440
	ds_store_b128 v112, v[24:27] offset:6528
	v_fma_f64 v[0:1], v[28:29], s[16:17], v[156:157]
	v_fma_f64 v[2:3], v[32:33], s[16:17], v[154:155]
	;; [unrolled: 1-line block ×4, first 2 shown]
	s_delay_alu instid0(VALU_DEP_4) | instskip(NEXT) | instid1(VALU_DEP_4)
	v_fma_f64 v[0:1], v[158:159], s[14:15], v[0:1]
	v_fma_f64 v[4:5], v[152:153], s[14:15], v[2:3]
	s_delay_alu instid0(VALU_DEP_4) | instskip(NEXT) | instid1(VALU_DEP_4)
	v_add_f64_e32 v[2:3], v[6:7], v[166:167]
	v_add_f64_e32 v[6:7], v[8:9], v[168:169]
	s_delay_alu instid0(VALU_DEP_2) | instskip(NEXT) | instid1(VALU_DEP_2)
	v_add_f64_e64 v[188:189], v[2:3], -v[0:1]
	v_add_f64_e32 v[190:191], v[4:5], v[6:7]
	s_and_saveexec_b32 s1, s0
	s_cbranch_execz .LBB0_11
; %bb.10:
	v_add_f64_e64 v[4:5], v[6:7], -v[4:5]
	scratch_load_b128 v[6:9], off, off offset:12 ; 16-byte Folded Reload
	v_add_f64_e32 v[2:3], v[0:1], v[2:3]
	v_lshlrev_b32_e32 v0, 4, v111
	ds_store_b128 v0, v[204:207] offset:25024
	s_wait_loadcnt 0x0
	ds_store_b128 v0, v[6:9] offset:26112
	scratch_load_b128 v[6:9], off, off offset:28 ; 16-byte Folded Reload
	s_wait_loadcnt 0x0
	ds_store_b128 v0, v[6:9] offset:27200
	ds_store_b128 v0, v[184:187] offset:28288
	;; [unrolled: 1-line block ×5, first 2 shown]
.LBB0_11:
	s_wait_alu 0xfffe
	s_or_b32 exec_lo, exec_lo, s1
	v_mad_co_u64_u32 v[24:25], null, v246, 48, s[2:3]
	scratch_store_b32 off, v246, off offset:8 ; 4-byte Folded Spill
	global_wb scope:SCOPE_SE
	s_wait_storecnt_dscnt 0x0
	s_barrier_signal -1
	s_barrier_wait -1
	global_inv scope:SCOPE_SE
	s_clause 0x7
	global_load_b128 v[148:151], v[24:25], off offset:7344
	global_load_b128 v[144:147], v[24:25], off offset:7360
	;; [unrolled: 1-line block ×8, first 2 shown]
	ds_load_b128 v[0:3], v110 offset:7616
	ds_load_b128 v[4:7], v110 offset:15232
	;; [unrolled: 1-line block ×6, first 2 shown]
	s_wait_loadcnt_dscnt 0x705
	v_mul_f64_e32 v[26:27], v[2:3], v[150:151]
	v_mul_f64_e32 v[28:29], v[0:1], v[150:151]
	s_wait_loadcnt_dscnt 0x604
	v_mul_f64_e32 v[30:31], v[6:7], v[146:147]
	v_mul_f64_e32 v[32:33], v[4:5], v[146:147]
	s_delay_alu instid0(VALU_DEP_4) | instskip(NEXT) | instid1(VALU_DEP_4)
	v_fma_f64 v[26:27], v[0:1], v[148:149], -v[26:27]
	v_fma_f64 v[28:29], v[2:3], v[148:149], v[28:29]
	s_wait_loadcnt_dscnt 0x501
	v_mul_f64_e32 v[0:1], v[18:19], v[142:143]
	v_mul_f64_e32 v[2:3], v[16:17], v[142:143]
	v_fma_f64 v[30:31], v[4:5], v[144:145], -v[30:31]
	v_fma_f64 v[32:33], v[6:7], v[144:145], v[32:33]
	s_wait_loadcnt 0x4
	v_mul_f64_e32 v[4:5], v[10:11], v[158:159]
	v_mul_f64_e32 v[6:7], v[8:9], v[158:159]
	v_fma_f64 v[16:17], v[16:17], v[140:141], -v[0:1]
	v_fma_f64 v[18:19], v[18:19], v[140:141], v[2:3]
	s_wait_loadcnt 0x3
	v_mul_f64_e32 v[0:1], v[14:15], v[166:167]
	v_mul_f64_e32 v[2:3], v[12:13], v[166:167]
	v_fma_f64 v[34:35], v[8:9], v[156:157], -v[4:5]
	v_fma_f64 v[36:37], v[10:11], v[156:157], v[6:7]
	s_wait_loadcnt_dscnt 0x200
	v_mul_f64_e32 v[4:5], v[22:23], v[170:171]
	v_mul_f64_e32 v[6:7], v[20:21], v[170:171]
	v_add_f64_e64 v[16:17], v[26:27], -v[16:17]
	v_add_f64_e64 v[18:19], v[28:29], -v[18:19]
	v_fma_f64 v[38:39], v[12:13], v[164:165], -v[0:1]
	v_fma_f64 v[40:41], v[14:15], v[164:165], v[2:3]
	ds_load_b128 v[0:3], v110 offset:11424
	v_fma_f64 v[20:21], v[20:21], v[168:169], -v[4:5]
	v_fma_f64 v[22:23], v[22:23], v[168:169], v[6:7]
	ds_load_b128 v[4:7], v110 offset:13328
	s_wait_loadcnt_dscnt 0x101
	v_mul_f64_e32 v[8:9], v[2:3], v[174:175]
	v_fma_f64 v[26:27], v[26:27], 2.0, -v[16:17]
	v_fma_f64 v[28:29], v[28:29], 2.0, -v[18:19]
	s_delay_alu instid0(VALU_DEP_3) | instskip(SKIP_1) | instid1(VALU_DEP_1)
	v_fma_f64 v[42:43], v[0:1], v[172:173], -v[8:9]
	v_mul_f64_e32 v[0:1], v[0:1], v[174:175]
	v_fma_f64 v[44:45], v[2:3], v[172:173], v[0:1]
	ds_load_b128 v[0:3], v110 offset:19040
	ds_load_b128 v[8:11], v110 offset:20944
	s_clause 0x1
	global_load_b128 v[196:199], v[24:25], off offset:18800
	global_load_b128 v[192:195], v[24:25], off offset:24480
	s_wait_loadcnt_dscnt 0x201
	v_mul_f64_e32 v[12:13], v[2:3], v[178:179]
	s_delay_alu instid0(VALU_DEP_1) | instskip(SKIP_1) | instid1(VALU_DEP_1)
	v_fma_f64 v[46:47], v[0:1], v[176:177], -v[12:13]
	v_mul_f64_e32 v[0:1], v[0:1], v[178:179]
	v_fma_f64 v[48:49], v[2:3], v[176:177], v[0:1]
	ds_load_b128 v[0:3], v110 offset:26656
	ds_load_b128 v[12:15], v110 offset:28560
	s_wait_loadcnt_dscnt 0x101
	v_mul_f64_e32 v[50:51], v[2:3], v[198:199]
	s_delay_alu instid0(VALU_DEP_1) | instskip(SKIP_1) | instid1(VALU_DEP_1)
	v_fma_f64 v[50:51], v[0:1], v[196:197], -v[50:51]
	v_mul_f64_e32 v[0:1], v[0:1], v[198:199]
	v_fma_f64 v[52:53], v[2:3], v[196:197], v[0:1]
	s_wait_loadcnt 0x0
	v_mul_f64_e32 v[0:1], v[6:7], v[194:195]
	s_delay_alu instid0(VALU_DEP_1)
	v_fma_f64 v[54:55], v[4:5], v[192:193], -v[0:1]
	v_mul_f64_e32 v[0:1], v[4:5], v[194:195]
	s_clause 0x1
	global_load_b128 v[58:61], v[24:25], off offset:24496
	global_load_b128 v[2:5], v[24:25], off offset:24512
	v_fma_f64 v[56:57], v[6:7], v[192:193], v[0:1]
	s_wait_loadcnt 0x1
	v_mul_f64_e32 v[0:1], v[10:11], v[60:61]
	scratch_store_b128 off, v[58:61], off offset:524 ; 16-byte Folded Spill
	s_wait_loadcnt 0x0
	scratch_store_b128 off, v[2:5], off offset:508 ; 16-byte Folded Spill
	v_fma_f64 v[24:25], v[8:9], v[58:59], -v[0:1]
	v_mul_f64_e32 v[0:1], v[8:9], v[60:61]
	s_delay_alu instid0(VALU_DEP_1) | instskip(SKIP_2) | instid1(VALU_DEP_1)
	v_fma_f64 v[8:9], v[10:11], v[58:59], v[0:1]
	s_wait_dscnt 0x0
	v_mul_f64_e32 v[0:1], v[14:15], v[4:5]
	v_fma_f64 v[10:11], v[12:13], v[2:3], -v[0:1]
	v_mul_f64_e32 v[0:1], v[12:13], v[4:5]
	s_delay_alu instid0(VALU_DEP_2) | instskip(NEXT) | instid1(VALU_DEP_2)
	v_add_f64_e64 v[10:11], v[54:55], -v[10:11]
	v_fma_f64 v[12:13], v[14:15], v[2:3], v[0:1]
	ds_load_b128 v[0:3], v110
	ds_load_b128 v[4:7], v110 offset:1904
	s_wait_dscnt 0x1
	v_add_f64_e64 v[14:15], v[0:1], -v[30:31]
	v_add_f64_e64 v[30:31], v[2:3], -v[32:33]
	s_wait_dscnt 0x0
	v_add_f64_e64 v[38:39], v[4:5], -v[38:39]
	v_add_f64_e64 v[40:41], v[6:7], -v[40:41]
	;; [unrolled: 1-line block ×4, first 2 shown]
	v_add_f64_e32 v[138:139], v[30:31], v[16:17]
	v_add_f64_e64 v[16:17], v[34:35], -v[20:21]
	v_add_f64_e64 v[18:19], v[36:37], -v[22:23]
	v_fma_f64 v[32:33], v[0:1], 2.0, -v[14:15]
	v_fma_f64 v[58:59], v[2:3], 2.0, -v[30:31]
	;; [unrolled: 1-line block ×4, first 2 shown]
	ds_load_b128 v[0:3], v110 offset:3808
	ds_load_b128 v[4:7], v110 offset:5712
	s_wait_dscnt 0x1
	v_add_f64_e64 v[46:47], v[0:1], -v[46:47]
	v_add_f64_e64 v[48:49], v[2:3], -v[48:49]
	s_wait_dscnt 0x0
	v_add_f64_e64 v[24:25], v[4:5], -v[24:25]
	v_add_f64_e64 v[8:9], v[6:7], -v[8:9]
	v_fma_f64 v[20:21], v[34:35], 2.0, -v[16:17]
	v_fma_f64 v[22:23], v[36:37], 2.0, -v[18:19]
	v_add_f64_e64 v[240:241], v[38:39], -v[18:19]
	v_add_f64_e32 v[242:243], v[40:41], v[16:17]
	v_add_f64_e64 v[16:17], v[42:43], -v[50:51]
	v_add_f64_e64 v[18:19], v[44:45], -v[52:53]
	v_add_f64_e64 v[160:161], v[32:33], -v[26:27]
	v_add_f64_e64 v[162:163], v[58:59], -v[28:29]
	v_fma_f64 v[0:1], v[0:1], 2.0, -v[46:47]
	v_fma_f64 v[2:3], v[2:3], 2.0, -v[48:49]
	;; [unrolled: 1-line block ×4, first 2 shown]
	v_add_f64_e64 v[212:213], v[24:25], -v[12:13]
	v_add_f64_e32 v[214:215], v[8:9], v[10:11]
	v_add_f64_e64 v[248:249], v[68:69], -v[20:21]
	v_add_f64_e64 v[250:251], v[70:71], -v[22:23]
	v_fma_f64 v[252:253], v[38:39], 2.0, -v[240:241]
	v_fma_f64 v[254:255], v[40:41], 2.0, -v[242:243]
	;; [unrolled: 1-line block ×4, first 2 shown]
	v_add_f64_e64 v[224:225], v[46:47], -v[18:19]
	v_add_f64_e32 v[226:227], v[48:49], v[16:17]
	v_fma_f64 v[16:17], v[54:55], 2.0, -v[10:11]
	v_fma_f64 v[18:19], v[56:57], 2.0, -v[12:13]
	;; [unrolled: 1-line block ×8, first 2 shown]
	v_add_f64_e64 v[232:233], v[0:1], -v[34:35]
	v_add_f64_e64 v[234:235], v[2:3], -v[36:37]
	v_fma_f64 v[236:237], v[46:47], 2.0, -v[224:225]
	v_fma_f64 v[238:239], v[48:49], 2.0, -v[226:227]
	v_add_f64_e64 v[216:217], v[4:5], -v[16:17]
	v_add_f64_e64 v[218:219], v[6:7], -v[18:19]
	v_fma_f64 v[16:17], v[14:15], 2.0, -v[136:137]
	v_fma_f64 v[18:19], v[30:31], 2.0, -v[138:139]
	;; [unrolled: 1-line block ×6, first 2 shown]
	ds_store_b128 v110, v[136:139] offset:22848
	ds_store_b128 v110, v[240:243] offset:24752
	;; [unrolled: 1-line block ×12, first 2 shown]
	ds_store_b128 v110, v[208:211]
	ds_store_b128 v110, v[152:155] offset:1904
	ds_store_b128 v110, v[244:247] offset:3808
	;; [unrolled: 1-line block ×3, first 2 shown]
	global_wb scope:SCOPE_SE
	s_wait_storecnt_dscnt 0x0
	s_barrier_signal -1
	s_barrier_wait -1
	global_inv scope:SCOPE_SE
	s_and_saveexec_b32 s1, vcc_lo
	s_cbranch_execz .LBB0_13
; %bb.12:
	global_load_b128 v[0:3], v108, s[8:9] offset:30464
	s_add_nc_u64 s[2:3], s[8:9], 0x7700
	s_clause 0x6
	global_load_b128 v[4:7], v108, s[2:3] offset:1792
	global_load_b128 v[8:11], v108, s[2:3] offset:3584
	;; [unrolled: 1-line block ×7, first 2 shown]
	ds_load_b128 v[36:39], v110
	s_clause 0x1
	global_load_b128 v[40:43], v108, s[2:3] offset:14336
	global_load_b128 v[56:59], v108, s[2:3] offset:19712
	s_wait_loadcnt_dscnt 0x900
	v_mul_f64_e32 v[44:45], v[38:39], v[2:3]
	v_mul_f64_e32 v[2:3], v[36:37], v[2:3]
	s_delay_alu instid0(VALU_DEP_2) | instskip(NEXT) | instid1(VALU_DEP_2)
	v_fma_f64 v[36:37], v[36:37], v[0:1], -v[44:45]
	v_fma_f64 v[38:39], v[38:39], v[0:1], v[2:3]
	s_clause 0x1
	global_load_b128 v[0:3], v108, s[2:3] offset:16128
	global_load_b128 v[44:47], v108, s[2:3] offset:17920
	ds_store_b128 v110, v[36:39]
	ds_load_b128 v[36:39], v108 offset:1792
	ds_load_b128 v[48:51], v108 offset:3584
	;; [unrolled: 1-line block ×3, first 2 shown]
	s_wait_loadcnt_dscnt 0xa02
	v_mul_f64_e32 v[68:69], v[38:39], v[6:7]
	v_mul_f64_e32 v[6:7], v[36:37], v[6:7]
	s_wait_loadcnt_dscnt 0x901
	v_mul_f64_e32 v[70:71], v[50:51], v[10:11]
	v_mul_f64_e32 v[10:11], v[48:49], v[10:11]
	s_delay_alu instid0(VALU_DEP_4) | instskip(NEXT) | instid1(VALU_DEP_4)
	v_fma_f64 v[36:37], v[36:37], v[4:5], -v[68:69]
	v_fma_f64 v[38:39], v[38:39], v[4:5], v[6:7]
	ds_load_b128 v[4:7], v108 offset:7168
	s_wait_loadcnt_dscnt 0x801
	v_mul_f64_e32 v[68:69], v[54:55], v[14:15]
	v_mul_f64_e32 v[14:15], v[52:53], v[14:15]
	v_fma_f64 v[48:49], v[48:49], v[8:9], -v[70:71]
	v_fma_f64 v[50:51], v[50:51], v[8:9], v[10:11]
	global_load_b128 v[8:11], v108, s[2:3] offset:21504
	s_wait_loadcnt_dscnt 0x800
	v_mul_f64_e32 v[180:181], v[6:7], v[22:23]
	v_mul_f64_e32 v[22:23], v[4:5], v[22:23]
	v_fma_f64 v[52:53], v[52:53], v[12:13], -v[68:69]
	v_fma_f64 v[54:55], v[54:55], v[12:13], v[14:15]
	ds_load_b128 v[12:15], v108 offset:8960
	ds_load_b128 v[68:71], v108 offset:10752
	v_fma_f64 v[4:5], v[4:5], v[20:21], -v[180:181]
	v_fma_f64 v[6:7], v[6:7], v[20:21], v[22:23]
	global_load_b128 v[20:23], v108, s[2:3] offset:23296
	s_wait_loadcnt_dscnt 0x801
	v_mul_f64_e32 v[180:181], v[14:15], v[26:27]
	v_mul_f64_e32 v[26:27], v[12:13], v[26:27]
	s_delay_alu instid0(VALU_DEP_2) | instskip(SKIP_3) | instid1(VALU_DEP_4)
	v_fma_f64 v[12:13], v[12:13], v[24:25], -v[180:181]
	s_wait_loadcnt_dscnt 0x700
	v_mul_f64_e32 v[180:181], v[70:71], v[30:31]
	v_mul_f64_e32 v[30:31], v[68:69], v[30:31]
	v_fma_f64 v[14:15], v[14:15], v[24:25], v[26:27]
	ds_load_b128 v[24:27], v108 offset:12544
	v_fma_f64 v[68:69], v[68:69], v[28:29], -v[180:181]
	v_fma_f64 v[70:71], v[70:71], v[28:29], v[30:31]
	ds_load_b128 v[28:31], v108 offset:14336
	s_wait_loadcnt_dscnt 0x601
	v_mul_f64_e32 v[180:181], v[26:27], v[34:35]
	v_mul_f64_e32 v[34:35], v[24:25], v[34:35]
	s_delay_alu instid0(VALU_DEP_2) | instskip(SKIP_3) | instid1(VALU_DEP_4)
	v_fma_f64 v[24:25], v[24:25], v[32:33], -v[180:181]
	s_wait_loadcnt_dscnt 0x500
	v_mul_f64_e32 v[180:181], v[30:31], v[42:43]
	v_mul_f64_e32 v[42:43], v[28:29], v[42:43]
	v_fma_f64 v[26:27], v[26:27], v[32:33], v[34:35]
	ds_load_b128 v[32:35], v108 offset:16128
	v_fma_f64 v[28:29], v[28:29], v[40:41], -v[180:181]
	v_fma_f64 v[30:31], v[30:31], v[40:41], v[42:43]
	ds_load_b128 v[40:43], v108 offset:17920
	;; [unrolled: 13-line block ×3, first 2 shown]
	s_wait_dscnt 0x1
	v_mul_f64_e32 v[180:181], v[2:3], v[58:59]
	v_mul_f64_e32 v[58:59], v[0:1], v[58:59]
	s_delay_alu instid0(VALU_DEP_2) | instskip(SKIP_3) | instid1(VALU_DEP_4)
	v_fma_f64 v[0:1], v[0:1], v[56:57], -v[180:181]
	s_wait_loadcnt_dscnt 0x100
	v_mul_f64_e32 v[180:181], v[46:47], v[10:11]
	v_mul_f64_e32 v[10:11], v[44:45], v[10:11]
	v_fma_f64 v[2:3], v[2:3], v[56:57], v[58:59]
	ds_load_b128 v[56:59], v108 offset:23296
	v_fma_f64 v[44:45], v[44:45], v[8:9], -v[180:181]
	v_fma_f64 v[46:47], v[46:47], v[8:9], v[10:11]
	ds_load_b128 v[8:11], v108 offset:25088
	s_wait_loadcnt_dscnt 0x1
	v_mul_f64_e32 v[180:181], v[58:59], v[22:23]
	v_mul_f64_e32 v[22:23], v[56:57], v[22:23]
	s_delay_alu instid0(VALU_DEP_2) | instskip(NEXT) | instid1(VALU_DEP_2)
	v_fma_f64 v[56:57], v[56:57], v[20:21], -v[180:181]
	v_fma_f64 v[58:59], v[58:59], v[20:21], v[22:23]
	s_clause 0x1
	global_load_b128 v[20:23], v108, s[2:3] offset:25088
	global_load_b128 v[180:183], v108, s[2:3] offset:26880
	s_wait_loadcnt_dscnt 0x100
	v_mul_f64_e32 v[200:201], v[10:11], v[22:23]
	v_mul_f64_e32 v[22:23], v[8:9], v[22:23]
	s_delay_alu instid0(VALU_DEP_2) | instskip(NEXT) | instid1(VALU_DEP_2)
	v_fma_f64 v[8:9], v[8:9], v[20:21], -v[200:201]
	v_fma_f64 v[10:11], v[10:11], v[20:21], v[22:23]
	ds_load_b128 v[20:23], v108 offset:26880
	ds_load_b128 v[200:203], v108 offset:28672
	s_wait_loadcnt_dscnt 0x1
	v_mul_f64_e32 v[64:65], v[22:23], v[182:183]
	v_mul_f64_e32 v[66:67], v[20:21], v[182:183]
	s_delay_alu instid0(VALU_DEP_2) | instskip(NEXT) | instid1(VALU_DEP_2)
	v_fma_f64 v[20:21], v[20:21], v[180:181], -v[64:65]
	v_fma_f64 v[22:23], v[22:23], v[180:181], v[66:67]
	global_load_b128 v[180:183], v108, s[2:3] offset:28672
	s_wait_loadcnt_dscnt 0x0
	v_mul_f64_e32 v[64:65], v[202:203], v[182:183]
	v_mul_f64_e32 v[66:67], v[200:201], v[182:183]
	s_delay_alu instid0(VALU_DEP_2) | instskip(NEXT) | instid1(VALU_DEP_2)
	v_fma_f64 v[200:201], v[200:201], v[180:181], -v[64:65]
	v_fma_f64 v[202:203], v[202:203], v[180:181], v[66:67]
	ds_store_b128 v108, v[36:39] offset:1792
	ds_store_b128 v108, v[48:51] offset:3584
	;; [unrolled: 1-line block ×16, first 2 shown]
.LBB0_13:
	s_wait_alu 0xfffe
	s_or_b32 exec_lo, exec_lo, s1
	global_wb scope:SCOPE_SE
	s_wait_dscnt 0x0
	s_barrier_signal -1
	s_barrier_wait -1
	global_inv scope:SCOPE_SE
	s_and_saveexec_b32 s1, vcc_lo
	s_cbranch_execz .LBB0_15
; %bb.14:
	ds_load_b128 v[208:211], v110
	ds_load_b128 v[16:19], v110 offset:1792
	ds_load_b128 v[160:163], v110 offset:3584
	;; [unrolled: 1-line block ×16, first 2 shown]
.LBB0_15:
	s_wait_alu 0xfffe
	s_or_b32 exec_lo, exec_lo, s1
	s_wait_dscnt 0x0
	v_add_f64_e64 v[54:55], v[18:19], -v[206:207]
	s_mov_b32 s16, 0x5d8e7cdc
	s_mov_b32 s17, 0xbfd71e95
	v_add_f64_e32 v[52:53], v[204:205], v[16:17]
	v_add_f64_e64 v[32:33], v[162:163], -v[214:215]
	s_mov_b32 s2, 0x370991
	s_mov_b32 s18, 0x2a9d6da3
	;; [unrolled: 1-line block ×4, first 2 shown]
	v_add_f64_e32 v[14:15], v[212:213], v[160:161]
	v_add_f64_e32 v[56:57], v[206:207], v[18:19]
	s_mov_b32 s10, 0x75d4884
	s_mov_b32 s11, 0x3fe7a5f6
	v_add_f64_e64 v[58:59], v[16:17], -v[204:205]
	v_add_f64_e32 v[20:21], v[214:215], v[162:163]
	v_add_f64_e64 v[8:9], v[160:161], -v[212:213]
	v_add_f64_e64 v[62:63], v[138:139], -v[218:219]
	s_mov_b32 s30, 0x7c9e640b
	s_mov_b32 s31, 0xbfeca52d
	v_add_f64_e32 v[26:27], v[138:139], v[218:219]
	s_mov_b32 s14, 0x2b2883cd
	s_mov_b32 s15, 0x3fdc86fa
	v_add_f64_e64 v[12:13], v[136:137], -v[216:217]
	v_add_f64_e64 v[70:71], v[154:155], -v[222:223]
	s_mov_b32 s40, 0xeb564b22
	s_mov_b32 s41, 0xbfefdd0d
	v_add_f64_e32 v[6:7], v[152:153], v[220:221]
	v_add_f64_e32 v[34:35], v[154:155], v[222:223]
	s_mov_b32 s20, 0x3259b75e
	s_mov_b32 s21, 0x3fb79ee6
	v_add_f64_e64 v[24:25], v[152:153], -v[220:221]
	v_add_f64_e64 v[76:77], v[254:255], -v[230:231]
	s_mov_b32 s42, 0x923c349f
	s_mov_b32 s43, 0xbfeec746
	v_add_f64_e32 v[48:49], v[228:229], v[252:253]
	v_add_f64_e32 v[46:47], v[230:231], v[254:255]
	s_mov_b32 s22, 0xc61f0d01
	s_mov_b32 s23, 0xbfd183b1
	s_wait_alu 0xfffe
	v_mul_f64_e32 v[60:61], s[16:17], v[54:55]
	v_add_f64_e64 v[28:29], v[252:253], -v[228:229]
	v_add_f64_e64 v[10:11], v[250:251], -v[226:227]
	v_add_f64_e32 v[30:31], v[224:225], v[248:249]
	v_mul_f64_e32 v[86:87], s[18:19], v[32:33]
	v_add_f64_e32 v[50:51], v[226:227], v[250:251]
	s_mov_b32 s24, 0x6ed5f1bb
	s_mov_b32 s25, 0xbfe348c8
	v_add_f64_e64 v[36:37], v[248:249], -v[224:225]
	v_add_f64_e32 v[44:45], v[242:243], v[234:235]
	v_mul_f64_e32 v[78:79], s[2:3], v[56:57]
	s_mov_b32 s26, 0x910ea3b9
	s_mov_b32 s27, 0xbfeb34fa
	v_add_f64_e64 v[84:85], v[242:243], -v[234:235]
	v_mul_f64_e32 v[88:89], s[10:11], v[20:21]
	v_add_f64_e64 v[40:41], v[240:241], -v[232:233]
	v_mul_f64_e32 v[90:91], s[30:31], v[62:63]
	s_mov_b32 s38, 0x4363dd80
	s_mov_b32 s39, 0xbfe0d888
	v_mul_f64_e32 v[92:93], s[14:15], v[26:27]
	v_add_f64_e32 v[68:69], v[240:241], v[232:233]
	s_mov_b32 s36, 0xacd6c6b4
	s_mov_b32 s37, 0xbfc7851a
	v_mul_f64_e32 v[94:95], s[40:41], v[70:71]
	s_mov_b32 s28, 0x7faef3
	s_mov_b32 s29, 0xbfef7484
	global_wb scope:SCOPE_SE
	v_mul_f64_e32 v[96:97], s[20:21], v[34:35]
	s_barrier_signal -1
	s_barrier_wait -1
	global_inv scope:SCOPE_SE
	v_mul_f64_e32 v[98:99], s[42:43], v[76:77]
	v_mul_f64_e32 v[102:103], s[22:23], v[46:47]
	v_fma_f64 v[0:1], v[52:53], s[2:3], -v[60:61]
	v_mul_f64_e32 v[100:101], s[34:35], v[10:11]
	v_fma_f64 v[2:3], v[14:15], s[10:11], -v[86:87]
	s_wait_alu 0xfffe
	v_mul_f64_e32 v[115:116], s[24:25], v[50:51]
	v_mul_f64_e32 v[119:120], s[26:27], v[44:45]
	;; [unrolled: 1-line block ×3, first 2 shown]
	v_fma_f64 v[4:5], v[8:9], s[18:19], v[88:89]
	v_add_f64_e32 v[0:1], v[208:209], v[0:1]
	s_delay_alu instid0(VALU_DEP_4) | instskip(NEXT) | instid1(VALU_DEP_2)
	v_fma_f64 v[38:39], v[40:41], s[38:39], v[119:120]
	v_add_f64_e32 v[0:1], v[2:3], v[0:1]
	v_fma_f64 v[2:3], v[58:59], s[16:17], v[78:79]
	s_delay_alu instid0(VALU_DEP_1) | instskip(NEXT) | instid1(VALU_DEP_1)
	v_add_f64_e32 v[2:3], v[210:211], v[2:3]
	v_add_f64_e32 v[2:3], v[4:5], v[2:3]
	;; [unrolled: 1-line block ×3, first 2 shown]
	s_delay_alu instid0(VALU_DEP_1) | instskip(SKIP_1) | instid1(VALU_DEP_1)
	v_dual_mov_b32 v23, v5 :: v_dual_mov_b32 v22, v4
	v_fma_f64 v[4:5], v[4:5], s[14:15], -v[90:91]
	v_add_f64_e32 v[0:1], v[4:5], v[0:1]
	v_fma_f64 v[4:5], v[12:13], s[30:31], v[92:93]
	s_delay_alu instid0(VALU_DEP_1) | instskip(SKIP_1) | instid1(VALU_DEP_1)
	v_add_f64_e32 v[2:3], v[4:5], v[2:3]
	v_fma_f64 v[4:5], v[6:7], s[20:21], -v[94:95]
	v_add_f64_e32 v[0:1], v[4:5], v[0:1]
	v_fma_f64 v[4:5], v[24:25], s[40:41], v[96:97]
	s_delay_alu instid0(VALU_DEP_1) | instskip(SKIP_1) | instid1(VALU_DEP_1)
	v_add_f64_e32 v[2:3], v[4:5], v[2:3]
	;; [unrolled: 5-line block ×3, first 2 shown]
	v_fma_f64 v[4:5], v[30:31], s[24:25], -v[100:101]
	v_add_f64_e32 v[0:1], v[4:5], v[0:1]
	v_fma_f64 v[4:5], v[36:37], s[34:35], v[115:116]
	s_delay_alu instid0(VALU_DEP_1) | instskip(SKIP_1) | instid1(VALU_DEP_2)
	v_add_f64_e32 v[2:3], v[4:5], v[2:3]
	v_fma_f64 v[4:5], v[68:69], s[26:27], -v[113:114]
	v_add_f64_e32 v[64:65], v[38:39], v[2:3]
	v_add_f64_e64 v[38:39], v[246:247], -v[238:239]
	s_delay_alu instid0(VALU_DEP_3) | instskip(SKIP_2) | instid1(VALU_DEP_4)
	v_add_f64_e32 v[4:5], v[4:5], v[0:1]
	v_add_f64_e32 v[0:1], v[244:245], v[236:237]
	;; [unrolled: 1-line block ×3, first 2 shown]
	v_mul_f64_e32 v[117:118], s[36:37], v[38:39]
	s_delay_alu instid0(VALU_DEP_1) | instskip(NEXT) | instid1(VALU_DEP_1)
	v_fma_f64 v[42:43], v[0:1], s[28:29], -v[117:118]
	v_add_f64_e32 v[180:181], v[42:43], v[4:5]
	v_add_f64_e64 v[42:43], v[244:245], -v[236:237]
	v_mul_f64_e32 v[4:5], s[28:29], v[2:3]
	s_delay_alu instid0(VALU_DEP_1) | instskip(NEXT) | instid1(VALU_DEP_1)
	v_fma_f64 v[66:67], v[42:43], s[36:37], v[4:5]
	v_add_f64_e32 v[182:183], v[66:67], v[64:65]
	s_and_saveexec_b32 s1, vcc_lo
	s_cbranch_execz .LBB0_17
; %bb.16:
	v_add_f64_e32 v[18:19], v[210:211], v[18:19]
	v_add_f64_e32 v[16:17], v[208:209], v[16:17]
	v_mul_f64_e32 v[64:65], s[36:37], v[58:59]
	s_mov_b32 s51, 0x3fd71e95
	s_mov_b32 s50, s16
	;; [unrolled: 1-line block ×14, first 2 shown]
	s_wait_alu 0xfffe
	v_mul_f64_e32 v[124:125], s[50:51], v[24:25]
	v_mul_f64_e32 v[128:129], s[30:31], v[28:29]
	v_mov_b32_e32 v203, v147
	v_dual_mov_b32 v201, v145 :: v_dual_mov_b32 v202, v146
	v_mov_b32_e32 v200, v144
	v_add_f64_e32 v[18:19], v[162:163], v[18:19]
	v_add_f64_e32 v[16:17], v[160:161], v[16:17]
	v_mul_f64_e32 v[160:161], s[42:43], v[58:59]
	v_fma_f64 v[66:67], v[56:57], s[28:29], v[64:65]
	v_fma_f64 v[64:65], v[56:57], s[28:29], -v[64:65]
	v_fma_f64 v[126:127], v[34:35], s[2:3], -v[124:125]
	v_add_f64_e32 v[18:19], v[138:139], v[18:19]
	v_add_f64_e32 v[16:17], v[136:137], v[16:17]
	v_fma_f64 v[162:163], v[56:57], s[22:23], v[160:161]
	v_mul_f64_e32 v[136:137], s[38:39], v[58:59]
	v_fma_f64 v[160:161], v[56:57], s[22:23], -v[160:161]
	v_add_f64_e32 v[66:67], v[210:211], v[66:67]
	v_add_f64_e32 v[64:65], v[210:211], v[64:65]
	;; [unrolled: 1-line block ×4, first 2 shown]
	v_mul_f64_e32 v[152:153], s[34:35], v[58:59]
	v_fma_f64 v[138:139], v[56:57], s[26:27], v[136:137]
	v_fma_f64 v[136:137], v[56:57], s[26:27], -v[136:137]
	v_add_f64_e32 v[18:19], v[254:255], v[18:19]
	v_add_f64_e32 v[16:17], v[252:253], v[16:17]
	v_fma_f64 v[154:155], v[56:57], s[24:25], v[152:153]
	v_fma_f64 v[152:153], v[56:57], s[24:25], -v[152:153]
	v_dual_mov_b32 v253, v15 :: v_dual_mov_b32 v252, v14
	v_add_f64_e32 v[18:19], v[250:251], v[18:19]
	v_add_f64_e32 v[16:17], v[248:249], v[16:17]
	;; [unrolled: 1-line block ×4, first 2 shown]
	v_mul_f64_e32 v[152:153], s[38:39], v[12:13]
	v_add_f64_e32 v[250:251], v[210:211], v[136:137]
	v_add_f64_e32 v[18:19], v[242:243], v[18:19]
	;; [unrolled: 1-line block ×3, first 2 shown]
	s_delay_alu instid0(VALU_DEP_4) | instskip(NEXT) | instid1(VALU_DEP_3)
	v_fma_f64 v[138:139], v[26:27], s[26:27], v[152:153]
	v_add_f64_e32 v[18:19], v[246:247], v[18:19]
	s_delay_alu instid0(VALU_DEP_3) | instskip(NEXT) | instid1(VALU_DEP_2)
	v_add_f64_e32 v[16:17], v[244:245], v[16:17]
	v_add_f64_e32 v[18:19], v[238:239], v[18:19]
	s_delay_alu instid0(VALU_DEP_2) | instskip(NEXT) | instid1(VALU_DEP_2)
	v_add_f64_e32 v[16:17], v[236:237], v[16:17]
	v_add_f64_e32 v[18:19], v[234:235], v[18:19]
	s_delay_alu instid0(VALU_DEP_2) | instskip(NEXT) | instid1(VALU_DEP_2)
	v_add_f64_e32 v[16:17], v[232:233], v[16:17]
	v_add_f64_e32 v[18:19], v[226:227], v[18:19]
	s_delay_alu instid0(VALU_DEP_2) | instskip(SKIP_2) | instid1(VALU_DEP_4)
	v_add_f64_e32 v[16:17], v[224:225], v[16:17]
	v_mul_f64_e32 v[224:225], s[42:43], v[54:55]
	v_mul_f64_e32 v[226:227], s[40:41], v[54:55]
	v_add_f64_e32 v[18:19], v[230:231], v[18:19]
	s_delay_alu instid0(VALU_DEP_4) | instskip(NEXT) | instid1(VALU_DEP_4)
	v_add_f64_e32 v[16:17], v[228:229], v[16:17]
	v_fma_f64 v[236:237], v[52:53], s[22:23], -v[224:225]
	s_delay_alu instid0(VALU_DEP_4)
	v_fma_f64 v[238:239], v[52:53], s[20:21], -v[226:227]
	v_mul_f64_e32 v[228:229], s[30:31], v[54:55]
	v_fma_f64 v[224:225], v[52:53], s[22:23], v[224:225]
	v_fma_f64 v[226:227], v[52:53], s[20:21], v[226:227]
	v_add_f64_e32 v[18:19], v[222:223], v[18:19]
	v_add_f64_e32 v[16:17], v[220:221], v[16:17]
	v_mul_f64_e32 v[222:223], s[34:35], v[54:55]
	v_mul_f64_e32 v[220:221], s[38:39], v[54:55]
	v_fma_f64 v[240:241], v[52:53], s[14:15], -v[228:229]
	v_fma_f64 v[228:229], v[52:53], s[14:15], v[228:229]
	v_add_f64_e32 v[224:225], v[208:209], v[224:225]
	v_add_f64_e32 v[18:19], v[218:219], v[18:19]
	;; [unrolled: 1-line block ×3, first 2 shown]
	v_fma_f64 v[234:235], v[52:53], s[24:25], -v[222:223]
	v_mul_f64_e32 v[216:217], s[18:19], v[58:59]
	v_fma_f64 v[232:233], v[52:53], s[26:27], -v[220:221]
	v_fma_f64 v[220:221], v[52:53], s[26:27], v[220:221]
	v_fma_f64 v[222:223], v[52:53], s[24:25], v[222:223]
	v_add_f64_e32 v[18:19], v[214:215], v[18:19]
	v_add_f64_e32 v[16:17], v[212:213], v[16:17]
	v_mul_f64_e32 v[212:213], s[30:31], v[58:59]
	v_fma_f64 v[218:219], v[56:57], s[10:11], v[216:217]
	v_add_f64_e32 v[232:233], v[208:209], v[232:233]
	v_add_f64_e32 v[220:221], v[208:209], v[220:221]
	v_add_f64_e32 v[18:19], v[206:207], v[18:19]
	v_add_f64_e32 v[16:17], v[204:205], v[16:17]
	v_mul_f64_e32 v[204:205], s[40:41], v[58:59]
	v_fma_f64 v[214:215], v[56:57], s[14:15], v[212:213]
	v_fma_f64 v[212:213], v[56:57], s[14:15], -v[212:213]
	v_mul_f64_e32 v[58:59], s[16:17], v[58:59]
	scratch_store_b128 off, v[16:19], off offset:680 ; 16-byte Folded Spill
	v_add_f64_e32 v[16:17], v[210:211], v[154:155]
	v_fma_f64 v[206:207], v[56:57], s[20:21], v[204:205]
	v_fma_f64 v[204:205], v[56:57], s[20:21], -v[204:205]
	v_fma_f64 v[56:57], v[56:57], s[10:11], -v[216:217]
	v_add_f64_e64 v[58:59], v[78:79], -v[58:59]
	v_mul_f64_e32 v[216:217], s[36:37], v[54:55]
	v_mul_f64_e32 v[54:55], s[18:19], v[54:55]
	;; [unrolled: 1-line block ×3, first 2 shown]
	v_add_f64_e32 v[212:213], v[210:211], v[212:213]
	scratch_store_b64 off, v[16:17], off offset:832 ; 8-byte Folded Spill
	v_add_f64_e32 v[16:17], v[208:209], v[234:235]
	v_mul_f64_e32 v[234:235], s[34:35], v[12:13]
	v_fma_f64 v[230:231], v[52:53], s[28:29], -v[216:217]
	v_fma_f64 v[216:217], v[52:53], s[28:29], v[216:217]
	v_fma_f64 v[242:243], v[52:53], s[10:11], -v[54:55]
	v_fma_f64 v[244:245], v[52:53], s[10:11], v[54:55]
	v_mul_f64_e32 v[52:53], s[2:3], v[52:53]
	scratch_store_b64 off, v[16:17], off offset:824 ; 8-byte Folded Spill
	v_add_f64_e32 v[16:17], v[210:211], v[162:163]
	v_mul_f64_e32 v[162:163], s[48:49], v[70:71]
	v_add_f64_e32 v[230:231], v[208:209], v[230:231]
	v_add_f64_e32 v[216:217], v[208:209], v[216:217]
	;; [unrolled: 1-line block ×6, first 2 shown]
	v_mul_f64_e32 v[160:161], s[48:49], v[24:25]
	v_dual_mov_b32 v61, v31 :: v_dual_mov_b32 v60, v30
	scratch_store_b64 off, v[16:17], off offset:800 ; 8-byte Folded Spill
	v_add_f64_e32 v[16:17], v[208:209], v[236:237]
	v_dual_mov_b32 v237, v51 :: v_dual_mov_b32 v236, v50
	scratch_store_b64 off, v[16:17], off offset:792 ; 8-byte Folded Spill
	v_add_f64_e32 v[16:17], v[210:211], v[206:207]
	v_add_f64_e32 v[206:207], v[208:209], v[246:247]
	v_mul_f64_e32 v[246:247], s[44:45], v[10:11]
	scratch_store_b64 off, v[16:17], off offset:784 ; 8-byte Folded Spill
	v_add_f64_e32 v[16:17], v[208:209], v[238:239]
	s_clause 0x1
	scratch_store_b64 off, v[16:17], off offset:776
	scratch_store_b128 off, v[72:75], off offset:644
	v_add_f64_e32 v[16:17], v[210:211], v[214:215]
	v_add_f64_e32 v[72:73], v[210:211], v[204:205]
	;; [unrolled: 1-line block ×4, first 2 shown]
	v_dual_mov_b32 v229, v33 :: v_dual_mov_b32 v228, v32
	v_add_f64_e32 v[74:75], v[208:209], v[226:227]
	s_clause 0x1
	scratch_store_b128 off, v[80:83], off offset:664
	scratch_store_b32 off, v111, off offset:660
	v_mul_f64_e32 v[80:81], s[46:47], v[42:43]
	v_mul_f64_e32 v[226:227], s[50:51], v[42:43]
	;; [unrolled: 1-line block ×3, first 2 shown]
	scratch_store_b64 off, v[16:17], off offset:752 ; 8-byte Folded Spill
	v_add_f64_e32 v[16:17], v[208:209], v[240:241]
	v_mov_b32_e32 v241, v167
	v_dual_mov_b32 v239, v165 :: v_dual_mov_b32 v238, v164
	v_mov_b32_e32 v240, v166
	v_mul_f64_e32 v[164:165], s[46:47], v[36:37]
	v_fma_f64 v[82:83], v[2:3], s[20:21], v[80:81]
	v_fma_f64 v[146:147], v[14:15], s[26:27], v[144:145]
	scratch_store_b64 off, v[16:17], off offset:744 ; 8-byte Folded Spill
	v_add_f64_e32 v[16:17], v[210:211], v[218:219]
	v_add_f64_e32 v[218:219], v[210:211], v[56:57]
	v_mul_f64_e32 v[56:57], s[50:51], v[8:9]
	v_mul_f64_e32 v[210:211], s[34:35], v[76:77]
	v_fma_f64 v[166:167], v[236:237], s[20:21], -v[164:165]
	v_add_f64_e32 v[146:147], v[146:147], v[224:225]
	v_mul_f64_e32 v[224:225], s[48:49], v[12:13]
	scratch_store_b64 off, v[16:17], off offset:720 ; 8-byte Folded Spill
	v_add_f64_e32 v[16:17], v[208:209], v[242:243]
	v_fma_f64 v[58:59], v[20:21], s[2:3], v[56:57]
	v_fma_f64 v[56:57], v[20:21], s[2:3], -v[56:57]
	v_mul_f64_e32 v[208:209], s[34:35], v[28:29]
	scratch_store_b64 off, v[16:17], off offset:712 ; 8-byte Folded Spill
	v_add_f64_e32 v[58:59], v[58:59], v[66:67]
	v_mul_f64_e32 v[66:67], s[50:51], v[32:33]
	v_dual_mov_b32 v33, v23 :: v_dual_mov_b32 v32, v22
	v_add_f64_e32 v[56:57], v[56:57], v[64:65]
	v_dual_mov_b32 v22, v26 :: v_dual_mov_b32 v23, v27
	v_add_f64_e32 v[58:59], v[138:139], v[58:59]
	v_fma_f64 v[136:137], v[14:15], s[2:3], -v[66:67]
	v_fma_f64 v[138:139], v[32:33], s[26:27], -v[154:155]
	v_fma_f64 v[64:65], v[14:15], s[2:3], v[66:67]
	v_fma_f64 v[66:67], v[26:27], s[26:27], -v[152:153]
	s_delay_alu instid0(VALU_DEP_4) | instskip(SKIP_1) | instid1(VALU_DEP_4)
	v_add_f64_e32 v[136:137], v[136:137], v[230:231]
	v_mul_f64_e32 v[230:231], s[44:45], v[36:37]
	v_add_f64_e32 v[64:65], v[64:65], v[216:217]
	s_delay_alu instid0(VALU_DEP_4)
	v_add_f64_e32 v[56:57], v[66:67], v[56:57]
	v_fma_f64 v[66:67], v[32:33], s[26:27], v[154:155]
	v_dual_mov_b32 v152, v196 :: v_dual_mov_b32 v153, v197
	v_dual_mov_b32 v154, v198 :: v_dual_mov_b32 v155, v199
	;; [unrolled: 1-line block ×4, first 2 shown]
	v_mul_f64_e32 v[140:141], s[52:53], v[84:85]
	v_add_f64_e32 v[136:137], v[138:139], v[136:137]
	v_fma_f64 v[138:139], v[34:35], s[10:11], v[160:161]
	v_add_f64_e32 v[64:65], v[66:67], v[64:65]
	v_fma_f64 v[66:67], v[34:35], s[10:11], -v[160:161]
	v_fma_f64 v[142:143], v[68:69], s[24:25], v[140:141]
	s_delay_alu instid0(VALU_DEP_4) | instskip(SKIP_1) | instid1(VALU_DEP_4)
	v_add_f64_e32 v[58:59], v[138:139], v[58:59]
	v_fma_f64 v[138:139], v[6:7], s[10:11], -v[162:163]
	v_add_f64_e32 v[56:57], v[66:67], v[56:57]
	v_fma_f64 v[66:67], v[6:7], s[10:11], v[162:163]
	s_delay_alu instid0(VALU_DEP_3) | instskip(SKIP_1) | instid1(VALU_DEP_3)
	v_add_f64_e32 v[136:137], v[138:139], v[136:137]
	v_fma_f64 v[138:139], v[46:47], s[24:25], v[208:209]
	v_add_f64_e32 v[64:65], v[66:67], v[64:65]
	v_fma_f64 v[66:67], v[46:47], s[24:25], -v[208:209]
	s_delay_alu instid0(VALU_DEP_3) | instskip(SKIP_1) | instid1(VALU_DEP_3)
	v_add_f64_e32 v[58:59], v[138:139], v[58:59]
	v_fma_f64 v[138:139], v[48:49], s[24:25], -v[210:211]
	v_add_f64_e32 v[56:57], v[66:67], v[56:57]
	v_fma_f64 v[66:67], v[48:49], s[24:25], v[210:211]
	s_delay_alu instid0(VALU_DEP_3) | instskip(SKIP_1) | instid1(VALU_DEP_3)
	v_add_f64_e32 v[136:137], v[138:139], v[136:137]
	v_fma_f64 v[138:139], v[50:51], s[14:15], v[230:231]
	v_add_f64_e32 v[64:65], v[66:67], v[64:65]
	v_fma_f64 v[66:67], v[50:51], s[14:15], -v[230:231]
	s_delay_alu instid0(VALU_DEP_3)
	v_add_f64_e32 v[58:59], v[138:139], v[58:59]
	v_fma_f64 v[138:139], v[30:31], s[14:15], -v[246:247]
	v_dual_mov_b32 v31, v11 :: v_dual_mov_b32 v30, v10
	v_dual_mov_b32 v10, v76 :: v_dual_mov_b32 v11, v77
	v_mul_f64_e32 v[76:77], s[42:43], v[40:41]
	v_add_f64_e32 v[56:57], v[66:67], v[56:57]
	v_fma_f64 v[66:67], v[60:61], s[14:15], v[246:247]
	v_mul_f64_e32 v[246:247], s[42:43], v[42:43]
	v_mul_f64_e32 v[132:133], s[38:39], v[30:31]
	v_add_f64_e32 v[136:137], v[138:139], v[136:137]
	v_fma_f64 v[78:79], v[44:45], s[22:23], v[76:77]
	v_add_f64_e32 v[64:65], v[66:67], v[64:65]
	v_fma_f64 v[66:67], v[44:45], s[22:23], -v[76:77]
	v_mul_f64_e32 v[76:77], s[40:41], v[12:13]
	v_fma_f64 v[134:135], v[60:61], s[26:27], v[132:133]
	v_add_f64_e32 v[58:59], v[78:79], v[58:59]
	v_mul_f64_e32 v[78:79], s[42:43], v[84:85]
	v_add_f64_e32 v[56:57], v[66:67], v[56:57]
	s_delay_alu instid0(VALU_DEP_3) | instskip(NEXT) | instid1(VALU_DEP_3)
	v_add_f64_e32 v[18:19], v[82:83], v[58:59]
	v_fma_f64 v[138:139], v[68:69], s[22:23], -v[78:79]
	v_mul_f64_e32 v[58:59], s[46:47], v[38:39]
	v_fma_f64 v[66:67], v[68:69], s[22:23], v[78:79]
	v_fma_f64 v[78:79], v[26:27], s[20:21], v[76:77]
	v_fma_f64 v[76:77], v[26:27], s[20:21], -v[76:77]
	v_add_f64_e32 v[136:137], v[138:139], v[136:137]
	v_fma_f64 v[82:83], v[0:1], s[20:21], -v[58:59]
	v_add_f64_e32 v[64:65], v[66:67], v[64:65]
	v_fma_f64 v[58:59], v[0:1], s[20:21], v[58:59]
	v_fma_f64 v[66:67], v[2:3], s[20:21], -v[80:81]
	s_delay_alu instid0(VALU_DEP_4)
	v_add_f64_e32 v[16:17], v[82:83], v[136:137]
	v_dual_mov_b32 v136, v192 :: v_dual_mov_b32 v137, v193
	v_dual_mov_b32 v138, v194 :: v_dual_mov_b32 v139, v195
	;; [unrolled: 1-line block ×4, first 2 shown]
	v_mul_f64_e32 v[168:169], s[16:17], v[40:41]
	scratch_store_b128 off, v[16:19], off offset:696 ; 16-byte Folded Spill
	v_add_f64_e32 v[16:17], v[58:59], v[64:65]
	v_mul_f64_e32 v[64:65], s[44:45], v[8:9]
	v_add_f64_e32 v[18:19], v[66:67], v[56:57]
	v_mul_f64_e32 v[66:67], s[44:45], v[228:229]
	v_fma_f64 v[170:171], v[44:45], s[2:3], -v[168:169]
	s_delay_alu instid0(VALU_DEP_4) | instskip(SKIP_1) | instid1(VALU_DEP_4)
	v_fma_f64 v[56:57], v[20:21], s[14:15], v[64:65]
	v_fma_f64 v[64:65], v[20:21], s[14:15], -v[64:65]
	v_fma_f64 v[58:59], v[14:15], s[14:15], -v[66:67]
	v_fma_f64 v[66:67], v[14:15], s[14:15], v[66:67]
	scratch_store_b128 off, v[16:19], off offset:728 ; 16-byte Folded Spill
	v_add_f64_e32 v[56:57], v[56:57], v[248:249]
	v_add_f64_e32 v[64:65], v[64:65], v[250:251]
	;; [unrolled: 1-line block ×4, first 2 shown]
	v_mul_f64_e32 v[248:249], s[42:43], v[38:39]
	v_add_f64_e32 v[56:57], v[78:79], v[56:57]
	v_mul_f64_e32 v[78:79], s[40:41], v[62:63]
	v_add_f64_e32 v[64:65], v[76:77], v[64:65]
	s_delay_alu instid0(VALU_DEP_2) | instskip(SKIP_2) | instid1(VALU_DEP_3)
	v_fma_f64 v[80:81], v[32:33], s[20:21], -v[78:79]
	v_fma_f64 v[76:77], v[32:33], s[20:21], v[78:79]
	v_fma_f64 v[78:79], v[0:1], s[22:23], v[248:249]
	v_add_f64_e32 v[58:59], v[80:81], v[58:59]
	v_mul_f64_e32 v[80:81], s[52:53], v[24:25]
	s_delay_alu instid0(VALU_DEP_4) | instskip(NEXT) | instid1(VALU_DEP_2)
	v_add_f64_e32 v[66:67], v[76:77], v[66:67]
	v_fma_f64 v[82:83], v[34:35], s[24:25], v[80:81]
	v_fma_f64 v[76:77], v[34:35], s[24:25], -v[80:81]
	v_mul_f64_e32 v[80:81], s[40:41], v[24:25]
	s_delay_alu instid0(VALU_DEP_3) | instskip(SKIP_1) | instid1(VALU_DEP_4)
	v_add_f64_e32 v[56:57], v[82:83], v[56:57]
	v_mul_f64_e32 v[82:83], s[52:53], v[70:71]
	v_add_f64_e32 v[64:65], v[76:77], v[64:65]
	s_delay_alu instid0(VALU_DEP_4) | instskip(SKIP_1) | instid1(VALU_DEP_4)
	v_add_f64_e64 v[80:81], v[96:97], -v[80:81]
	v_mul_f64_e32 v[96:97], s[56:57], v[12:13]
	v_fma_f64 v[160:161], v[6:7], s[24:25], -v[82:83]
	v_fma_f64 v[76:77], v[6:7], s[24:25], v[82:83]
	v_mul_f64_e32 v[82:83], s[20:21], v[6:7]
	s_delay_alu instid0(VALU_DEP_3) | instskip(SKIP_1) | instid1(VALU_DEP_4)
	v_add_f64_e32 v[58:59], v[160:161], v[58:59]
	v_mul_f64_e32 v[160:161], s[16:17], v[28:29]
	v_add_f64_e32 v[66:67], v[76:77], v[66:67]
	s_delay_alu instid0(VALU_DEP_4) | instskip(NEXT) | instid1(VALU_DEP_3)
	v_add_f64_e32 v[82:83], v[82:83], v[94:95]
	v_fma_f64 v[162:163], v[46:47], s[2:3], v[160:161]
	v_fma_f64 v[76:77], v[46:47], s[2:3], -v[160:161]
	v_mul_f64_e32 v[160:161], s[34:35], v[62:63]
	s_delay_alu instid0(VALU_DEP_3) | instskip(SKIP_1) | instid1(VALU_DEP_4)
	v_add_f64_e32 v[56:57], v[162:163], v[56:57]
	v_mul_f64_e32 v[162:163], s[16:17], v[10:11]
	v_add_f64_e32 v[64:65], v[76:77], v[64:65]
	s_delay_alu instid0(VALU_DEP_2) | instskip(SKIP_2) | instid1(VALU_DEP_3)
	v_fma_f64 v[208:209], v[48:49], s[2:3], -v[162:163]
	v_fma_f64 v[76:77], v[48:49], s[2:3], v[162:163]
	v_dual_mov_b32 v163, v63 :: v_dual_mov_b32 v162, v62
	v_add_f64_e32 v[58:59], v[208:209], v[58:59]
	v_mul_f64_e32 v[208:209], s[36:37], v[36:37]
	s_delay_alu instid0(VALU_DEP_4) | instskip(NEXT) | instid1(VALU_DEP_2)
	v_add_f64_e32 v[66:67], v[76:77], v[66:67]
	v_fma_f64 v[210:211], v[50:51], s[28:29], v[208:209]
	v_fma_f64 v[76:77], v[50:51], s[28:29], -v[208:209]
	v_mul_f64_e32 v[208:209], s[42:43], v[28:29]
	s_mov_b32 s43, 0x3feec746
	s_wait_alu 0xfffe
	v_mul_f64_e32 v[250:251], s[42:43], v[30:31]
	s_delay_alu instid0(VALU_DEP_4) | instskip(SKIP_3) | instid1(VALU_DEP_3)
	v_add_f64_e32 v[56:57], v[210:211], v[56:57]
	v_mul_f64_e32 v[210:211], s[36:37], v[30:31]
	v_add_f64_e32 v[64:65], v[76:77], v[64:65]
	v_add_f64_e64 v[208:209], v[102:103], -v[208:209]
	v_fma_f64 v[216:217], v[60:61], s[28:29], -v[210:211]
	v_fma_f64 v[76:77], v[60:61], s[28:29], v[210:211]
	v_mul_f64_e32 v[210:211], s[22:23], v[48:49]
	s_delay_alu instid0(VALU_DEP_3) | instskip(SKIP_1) | instid1(VALU_DEP_4)
	v_add_f64_e32 v[58:59], v[216:217], v[58:59]
	v_mul_f64_e32 v[216:217], s[48:49], v[40:41]
	v_add_f64_e32 v[66:67], v[76:77], v[66:67]
	s_delay_alu instid0(VALU_DEP_4) | instskip(SKIP_1) | instid1(VALU_DEP_4)
	v_add_f64_e32 v[210:211], v[210:211], v[98:99]
	v_fma_f64 v[98:99], v[26:27], s[28:29], -v[96:97]
	v_fma_f64 v[230:231], v[44:45], s[10:11], v[216:217]
	v_fma_f64 v[76:77], v[44:45], s[10:11], -v[216:217]
	v_mul_f64_e32 v[216:217], s[34:35], v[36:37]
	s_delay_alu instid0(VALU_DEP_3) | instskip(SKIP_1) | instid1(VALU_DEP_4)
	v_add_f64_e32 v[56:57], v[230:231], v[56:57]
	v_mul_f64_e32 v[230:231], s[48:49], v[84:85]
	v_add_f64_e32 v[64:65], v[76:77], v[64:65]
	s_delay_alu instid0(VALU_DEP_4) | instskip(NEXT) | instid1(VALU_DEP_3)
	v_add_f64_e64 v[216:217], v[115:116], -v[216:217]
	v_fma_f64 v[232:233], v[68:69], s[10:11], -v[230:231]
	v_fma_f64 v[76:77], v[68:69], s[10:11], v[230:231]
	v_mul_f64_e32 v[230:231], s[36:37], v[24:25]
	s_delay_alu instid0(VALU_DEP_3) | instskip(SKIP_1) | instid1(VALU_DEP_4)
	v_add_f64_e32 v[232:233], v[232:233], v[58:59]
	v_fma_f64 v[58:59], v[2:3], s[22:23], v[246:247]
	v_add_f64_e32 v[66:67], v[76:77], v[66:67]
	v_fma_f64 v[76:77], v[2:3], s[22:23], -v[246:247]
	v_mul_f64_e32 v[246:247], s[54:55], v[10:11]
	s_delay_alu instid0(VALU_DEP_4) | instskip(SKIP_3) | instid1(VALU_DEP_3)
	v_add_f64_e32 v[18:19], v[58:59], v[56:57]
	v_fma_f64 v[56:57], v[0:1], s[22:23], -v[248:249]
	v_mul_f64_e32 v[248:249], s[42:43], v[36:37]
	v_dual_mov_b32 v59, v49 :: v_dual_mov_b32 v58, v48
	v_add_f64_e32 v[16:17], v[56:57], v[232:233]
	v_mul_f64_e32 v[232:233], s[36:37], v[70:71]
	v_dual_mov_b32 v54, v176 :: v_dual_mov_b32 v55, v177
	v_dual_mov_b32 v56, v178 :: v_dual_mov_b32 v57, v179
	;; [unrolled: 1-line block ×4, first 2 shown]
	v_mul_f64_e32 v[104:105], s[16:17], v[36:37]
	scratch_store_b128 off, v[16:19], off offset:760 ; 16-byte Folded Spill
	v_add_f64_e32 v[16:17], v[78:79], v[66:67]
	v_mul_f64_e32 v[66:67], s[10:11], v[14:15]
	v_mul_f64_e32 v[78:79], s[14:15], v[32:33]
	v_add_f64_e32 v[18:19], v[76:77], v[64:65]
	v_mul_f64_e32 v[64:65], s[18:19], v[8:9]
	v_mul_f64_e32 v[76:77], s[30:31], v[12:13]
	v_fma_f64 v[106:107], v[236:237], s[2:3], -v[104:105]
	v_add_f64_e32 v[66:67], v[66:67], v[86:87]
	v_add_f64_e32 v[78:79], v[78:79], v[90:91]
	v_fma_f64 v[90:91], v[2:3], s[2:3], -v[226:227]
	v_add_f64_e64 v[64:65], v[88:89], -v[64:65]
	v_add_f64_e64 v[76:77], v[92:93], -v[76:77]
	v_mul_f64_e32 v[92:93], s[34:35], v[228:229]
	v_dual_mov_b32 v89, v47 :: v_dual_mov_b32 v88, v46
	s_delay_alu instid0(VALU_DEP_1) | instskip(SKIP_4) | instid1(VALU_DEP_4)
	v_fma_f64 v[130:131], v[88:89], s[14:15], -v[128:129]
	v_add_f64_e32 v[66:67], v[66:67], v[206:207]
	v_add_f64_e32 v[64:65], v[64:65], v[204:205]
	v_mul_f64_e32 v[204:205], s[24:25], v[60:61]
	v_fma_f64 v[94:95], v[14:15], s[24:25], v[92:93]
	v_add_f64_e32 v[66:67], v[78:79], v[66:67]
	v_mul_f64_e32 v[78:79], s[26:27], v[68:69]
	v_add_f64_e32 v[64:65], v[76:77], v[64:65]
	v_add_f64_e32 v[204:205], v[204:205], v[100:101]
	v_mul_f64_e32 v[76:77], s[38:39], v[40:41]
	v_mul_f64_e32 v[100:101], s[42:43], v[24:25]
	v_add_f64_e32 v[94:95], v[94:95], v[214:215]
	v_add_f64_e32 v[66:67], v[82:83], v[66:67]
	;; [unrolled: 1-line block ×3, first 2 shown]
	v_mul_f64_e32 v[82:83], s[28:29], v[0:1]
	v_add_f64_e32 v[64:65], v[80:81], v[64:65]
	v_mul_f64_e32 v[80:81], s[36:37], v[42:43]
	v_add_f64_e64 v[76:77], v[119:120], -v[76:77]
	v_fma_f64 v[102:103], v[34:35], s[22:23], -v[100:101]
	v_mov_b32_e32 v113, v109
	v_mov_b32_e32 v109, v112
	v_mul_f64_e32 v[111:112], s[40:41], v[40:41]
	v_mul_f64_e32 v[120:121], s[42:43], v[12:13]
	;; [unrolled: 1-line block ×3, first 2 shown]
	v_add_f64_e32 v[66:67], v[210:211], v[66:67]
	v_add_f64_e32 v[82:83], v[82:83], v[117:118]
	;; [unrolled: 1-line block ×3, first 2 shown]
	v_add_f64_e64 v[80:81], v[4:5], -v[80:81]
	v_mul_f64_e32 v[4:5], s[40:41], v[8:9]
	scratch_store_b128 off, v[16:19], off offset:808 ; 16-byte Folded Spill
	v_fma_f64 v[208:209], v[32:33], s[24:25], v[160:161]
	v_mul_f64_e32 v[116:117], s[38:39], v[42:43]
	v_fma_f64 v[114:115], v[44:45], s[20:21], -v[111:112]
	v_dual_mov_b32 v17, v1 :: v_dual_mov_b32 v16, v0
	v_fma_f64 v[122:123], v[26:27], s[22:23], -v[120:121]
	v_dual_mov_b32 v19, v7 :: v_dual_mov_b32 v18, v6
	v_add_f64_e32 v[66:67], v[204:205], v[66:67]
	v_add_f64_e32 v[64:65], v[216:217], v[64:65]
	scratch_store_b64 off, v[4:5], off offset:840 ; 8-byte Folded Spill
	v_fma_f64 v[118:119], v[2:3], s[26:27], -v[116:117]
	v_add_f64_e32 v[66:67], v[78:79], v[66:67]
	v_add_f64_e32 v[64:65], v[76:77], v[64:65]
	v_mul_f64_e32 v[76:77], s[44:45], v[40:41]
	s_delay_alu instid0(VALU_DEP_3)
	v_add_f64_e32 v[204:205], v[82:83], v[66:67]
	v_fma_f64 v[66:67], v[20:21], s[20:21], -v[4:5]
	v_mul_f64_e32 v[4:5], s[40:41], v[228:229]
	v_fma_f64 v[82:83], v[26:27], s[24:25], -v[234:235]
	v_fma_f64 v[62:63], v[44:45], s[14:15], -v[76:77]
	v_add_f64_e32 v[206:207], v[80:81], v[64:65]
	v_mul_f64_e32 v[64:65], s[50:51], v[38:39]
	v_add_f64_e32 v[66:67], v[66:67], v[218:219]
	v_fma_f64 v[78:79], v[14:15], s[20:21], v[4:5]
	scratch_store_b64 off, v[4:5], off offset:848 ; 8-byte Folded Spill
	v_dual_mov_b32 v4, v44 :: v_dual_mov_b32 v5, v45
	v_add_f64_e32 v[66:67], v[82:83], v[66:67]
	v_add_f64_e32 v[78:79], v[78:79], v[244:245]
	v_mul_f64_e32 v[244:245], s[54:55], v[28:29]
	v_dual_mov_b32 v80, v148 :: v_dual_mov_b32 v81, v149
	v_dual_mov_b32 v82, v150 :: v_dual_mov_b32 v83, v151
	v_mul_f64_e32 v[148:149], s[48:49], v[162:163]
	v_add_f64_e32 v[78:79], v[208:209], v[78:79]
	v_fma_f64 v[208:209], v[34:35], s[28:29], -v[230:231]
	s_delay_alu instid0(VALU_DEP_3) | instskip(NEXT) | instid1(VALU_DEP_2)
	v_fma_f64 v[150:151], v[32:33], s[10:11], v[148:149]
	v_add_f64_e32 v[66:67], v[208:209], v[66:67]
	v_fma_f64 v[208:209], v[6:7], s[28:29], v[232:233]
	s_delay_alu instid0(VALU_DEP_3) | instskip(SKIP_2) | instid1(VALU_DEP_4)
	v_add_f64_e32 v[146:147], v[150:151], v[146:147]
	v_mul_f64_e32 v[150:151], s[30:31], v[24:25]
	v_mul_f64_e32 v[24:25], s[38:39], v[24:25]
	v_add_f64_e32 v[78:79], v[208:209], v[78:79]
	v_fma_f64 v[208:209], v[46:47], s[26:27], -v[244:245]
	s_delay_alu instid0(VALU_DEP_1) | instskip(SKIP_1) | instid1(VALU_DEP_1)
	v_add_f64_e32 v[66:67], v[208:209], v[66:67]
	v_fma_f64 v[208:209], v[48:49], s[26:27], v[246:247]
	v_add_f64_e32 v[78:79], v[208:209], v[78:79]
	v_fma_f64 v[208:209], v[236:237], s[22:23], -v[248:249]
	s_delay_alu instid0(VALU_DEP_1) | instskip(SKIP_1) | instid1(VALU_DEP_2)
	v_add_f64_e32 v[66:67], v[208:209], v[66:67]
	v_fma_f64 v[208:209], v[60:61], s[22:23], v[250:251]
	v_add_f64_e32 v[62:63], v[62:63], v[66:67]
	v_mul_f64_e32 v[66:67], s[44:45], v[84:85]
	s_delay_alu instid0(VALU_DEP_3) | instskip(NEXT) | instid1(VALU_DEP_3)
	v_add_f64_e32 v[78:79], v[208:209], v[78:79]
	v_add_f64_e32 v[210:211], v[90:91], v[62:63]
	s_delay_alu instid0(VALU_DEP_3)
	v_fma_f64 v[208:209], v[68:69], s[14:15], v[66:67]
	v_fma_f64 v[90:91], v[0:1], s[2:3], v[64:65]
	v_mul_f64_e32 v[62:63], s[48:49], v[28:29]
	v_mul_f64_e32 v[0:1], s[38:39], v[36:37]
	;; [unrolled: 1-line block ×3, first 2 shown]
	v_add_f64_e32 v[78:79], v[208:209], v[78:79]
	s_delay_alu instid0(VALU_DEP_4) | instskip(NEXT) | instid1(VALU_DEP_2)
	v_fma_f64 v[86:87], v[46:47], s[10:11], -v[62:63]
	v_add_f64_e32 v[208:209], v[90:91], v[78:79]
	v_mul_f64_e32 v[78:79], s[34:35], v[8:9]
	s_delay_alu instid0(VALU_DEP_1) | instskip(NEXT) | instid1(VALU_DEP_1)
	v_fma_f64 v[90:91], v[20:21], s[24:25], -v[78:79]
	v_add_f64_e32 v[90:91], v[90:91], v[212:213]
	s_delay_alu instid0(VALU_DEP_1) | instskip(SKIP_1) | instid1(VALU_DEP_2)
	v_add_f64_e32 v[90:91], v[98:99], v[90:91]
	v_mul_f64_e32 v[98:99], s[56:57], v[162:163]
	v_add_f64_e32 v[90:91], v[102:103], v[90:91]
	s_delay_alu instid0(VALU_DEP_2) | instskip(SKIP_1) | instid1(VALU_DEP_3)
	v_fma_f64 v[212:213], v[32:33], s[28:29], v[98:99]
	v_mul_f64_e32 v[102:103], s[42:43], v[70:71]
	v_add_f64_e32 v[86:87], v[86:87], v[90:91]
	s_delay_alu instid0(VALU_DEP_3) | instskip(NEXT) | instid1(VALU_DEP_3)
	v_add_f64_e32 v[94:95], v[212:213], v[94:95]
	v_fma_f64 v[212:213], v[6:7], s[22:23], v[102:103]
	v_mul_f64_e32 v[90:91], s[48:49], v[10:11]
	s_delay_alu instid0(VALU_DEP_4) | instskip(SKIP_1) | instid1(VALU_DEP_4)
	v_add_f64_e32 v[86:87], v[106:107], v[86:87]
	v_mul_f64_e32 v[106:107], s[16:17], v[30:31]
	v_add_f64_e32 v[94:95], v[212:213], v[94:95]
	s_delay_alu instid0(VALU_DEP_4)
	v_fma_f64 v[212:213], v[48:49], s[10:11], v[90:91]
	v_mov_b32_e32 v48, v188
	v_dual_mov_b32 v50, v190 :: v_dual_mov_b32 v49, v189
	v_mov_b32_e32 v51, v191
	v_dual_mov_b32 v191, v187 :: v_dual_mov_b32 v190, v186
	v_dual_mov_b32 v189, v185 :: v_dual_mov_b32 v188, v184
	;; [unrolled: 1-line block ×4, first 2 shown]
	v_mul_f64_e32 v[156:157], s[30:31], v[70:71]
	v_add_f64_e32 v[86:87], v[114:115], v[86:87]
	v_mul_f64_e32 v[114:115], s[40:41], v[84:85]
	v_add_f64_e32 v[94:95], v[212:213], v[94:95]
	v_fma_f64 v[212:213], v[60:61], s[2:3], v[106:107]
	v_fma_f64 v[158:159], v[6:7], s[14:15], v[156:157]
	v_add_f64_e32 v[214:215], v[118:119], v[86:87]
	v_mul_f64_e32 v[86:87], s[38:39], v[38:39]
	s_delay_alu instid0(VALU_DEP_4)
	v_add_f64_e32 v[94:95], v[212:213], v[94:95]
	v_fma_f64 v[212:213], v[68:69], s[20:21], v[114:115]
	v_add_f64_e32 v[146:147], v[158:159], v[146:147]
	v_mul_f64_e32 v[158:159], s[36:37], v[28:29]
	v_mul_f64_e32 v[28:29], s[46:47], v[28:29]
	v_fma_f64 v[118:119], v[16:17], s[26:27], v[86:87]
	v_add_f64_e32 v[94:95], v[212:213], v[94:95]
	s_delay_alu instid0(VALU_DEP_1) | instskip(SKIP_1) | instid1(VALU_DEP_1)
	v_add_f64_e32 v[212:213], v[118:119], v[94:95]
	v_mul_f64_e32 v[94:95], s[36:37], v[8:9]
	v_fma_f64 v[118:119], v[20:21], s[28:29], -v[94:95]
	s_delay_alu instid0(VALU_DEP_1) | instskip(SKIP_1) | instid1(VALU_DEP_2)
	v_add_f64_e32 v[72:73], v[118:119], v[72:73]
	v_mul_f64_e32 v[118:119], s[36:37], v[228:229]
	v_add_f64_e32 v[72:73], v[122:123], v[72:73]
	s_delay_alu instid0(VALU_DEP_2) | instskip(SKIP_2) | instid1(VALU_DEP_4)
	v_fma_f64 v[216:217], v[14:15], s[28:29], v[118:119]
	v_mul_f64_e32 v[122:123], s[42:43], v[162:163]
	v_mul_f64_e32 v[14:15], s[36:37], v[10:11]
	v_add_f64_e32 v[72:73], v[126:127], v[72:73]
	s_delay_alu instid0(VALU_DEP_4) | instskip(NEXT) | instid1(VALU_DEP_4)
	v_add_f64_e32 v[74:75], v[216:217], v[74:75]
	v_fma_f64 v[216:217], v[32:33], s[22:23], v[122:123]
	v_mul_f64_e32 v[126:127], s[50:51], v[70:71]
	s_delay_alu instid0(VALU_DEP_4) | instskip(SKIP_1) | instid1(VALU_DEP_4)
	v_add_f64_e32 v[72:73], v[130:131], v[72:73]
	v_mul_f64_e32 v[130:131], s[30:31], v[10:11]
	v_add_f64_e32 v[74:75], v[216:217], v[74:75]
	s_delay_alu instid0(VALU_DEP_4) | instskip(NEXT) | instid1(VALU_DEP_1)
	v_fma_f64 v[216:217], v[6:7], s[2:3], v[126:127]
	v_add_f64_e32 v[74:75], v[216:217], v[74:75]
	s_delay_alu instid0(VALU_DEP_4) | instskip(NEXT) | instid1(VALU_DEP_1)
	v_fma_f64 v[216:217], v[58:59], s[14:15], v[130:131]
	v_add_f64_e32 v[74:75], v[216:217], v[74:75]
	v_fma_f64 v[216:217], v[236:237], s[26:27], -v[0:1]
	s_delay_alu instid0(VALU_DEP_2) | instskip(SKIP_1) | instid1(VALU_DEP_3)
	v_add_f64_e32 v[74:75], v[134:135], v[74:75]
	v_mul_f64_e32 v[134:135], s[52:53], v[40:41]
	v_add_f64_e32 v[72:73], v[216:217], v[72:73]
	v_mul_f64_e32 v[40:41], s[36:37], v[40:41]
	s_delay_alu instid0(VALU_DEP_4) | instskip(NEXT) | instid1(VALU_DEP_4)
	v_add_f64_e32 v[74:75], v[142:143], v[74:75]
	v_fma_f64 v[216:217], v[44:45], s[24:25], -v[134:135]
	v_mul_f64_e32 v[142:143], s[48:49], v[42:43]
	v_dual_mov_b32 v44, v172 :: v_dual_mov_b32 v45, v173
	v_dual_mov_b32 v46, v174 :: v_dual_mov_b32 v47, v175
	v_mul_f64_e32 v[172:173], s[34:35], v[42:43]
	v_mul_f64_e32 v[42:43], s[44:45], v[42:43]
	v_add_f64_e32 v[72:73], v[216:217], v[72:73]
	v_fma_f64 v[216:217], v[2:3], s[10:11], -v[142:143]
	s_delay_alu instid0(VALU_DEP_4) | instskip(NEXT) | instid1(VALU_DEP_2)
	v_fma_f64 v[174:175], v[2:3], s[24:25], -v[172:173]
	v_add_f64_e32 v[218:219], v[216:217], v[72:73]
	v_mul_f64_e32 v[72:73], s[48:49], v[38:39]
	s_delay_alu instid0(VALU_DEP_1) | instskip(NEXT) | instid1(VALU_DEP_1)
	v_fma_f64 v[216:217], v[16:17], s[10:11], v[72:73]
	v_add_f64_e32 v[216:217], v[216:217], v[74:75]
	v_mul_f64_e32 v[74:75], s[54:55], v[8:9]
	s_delay_alu instid0(VALU_DEP_1) | instskip(NEXT) | instid1(VALU_DEP_1)
	v_fma_f64 v[220:221], v[20:21], s[26:27], -v[74:75]
	v_add_f64_e32 v[220:221], v[220:221], v[222:223]
	v_fma_f64 v[222:223], v[26:27], s[10:11], -v[224:225]
	v_mul_f64_e32 v[26:27], s[46:47], v[30:31]
	s_delay_alu instid0(VALU_DEP_2) | instskip(SKIP_1) | instid1(VALU_DEP_1)
	v_add_f64_e32 v[220:221], v[222:223], v[220:221]
	v_fma_f64 v[222:223], v[34:35], s[14:15], -v[150:151]
	v_add_f64_e32 v[220:221], v[222:223], v[220:221]
	v_fma_f64 v[222:223], v[88:89], s[28:29], -v[158:159]
	s_delay_alu instid0(VALU_DEP_1) | instskip(SKIP_2) | instid1(VALU_DEP_3)
	v_add_f64_e32 v[220:221], v[222:223], v[220:221]
	v_fma_f64 v[222:223], v[58:59], s[28:29], v[14:15]
	v_fma_f64 v[14:15], v[58:59], s[28:29], -v[14:15]
	v_add_f64_e32 v[166:167], v[166:167], v[220:221]
	s_delay_alu instid0(VALU_DEP_3) | instskip(SKIP_2) | instid1(VALU_DEP_4)
	v_add_f64_e32 v[146:147], v[222:223], v[146:147]
	v_fma_f64 v[220:221], v[60:61], s[20:21], v[26:27]
	v_fma_f64 v[26:27], v[60:61], s[20:21], -v[26:27]
	v_add_f64_e32 v[166:167], v[170:171], v[166:167]
	v_mul_f64_e32 v[170:171], s[16:17], v[84:85]
	s_delay_alu instid0(VALU_DEP_4) | instskip(NEXT) | instid1(VALU_DEP_3)
	v_add_f64_e32 v[146:147], v[220:221], v[146:147]
	v_add_f64_e32 v[222:223], v[174:175], v[166:167]
	s_delay_alu instid0(VALU_DEP_3) | instskip(SKIP_2) | instid1(VALU_DEP_3)
	v_fma_f64 v[220:221], v[68:69], s[2:3], v[170:171]
	v_mul_f64_e32 v[166:167], s[34:35], v[38:39]
	v_mul_f64_e32 v[38:39], s[44:45], v[38:39]
	v_add_f64_e32 v[146:147], v[220:221], v[146:147]
	s_delay_alu instid0(VALU_DEP_3) | instskip(NEXT) | instid1(VALU_DEP_1)
	v_fma_f64 v[174:175], v[16:17], s[24:25], v[166:167]
	v_add_f64_e32 v[220:221], v[174:175], v[146:147]
	v_mul_f64_e32 v[146:147], s[42:43], v[8:9]
	v_mul_f64_e32 v[174:175], s[42:43], v[228:229]
	s_delay_alu instid0(VALU_DEP_2) | instskip(NEXT) | instid1(VALU_DEP_1)
	v_fma_f64 v[8:9], v[20:21], s[22:23], -v[146:147]
	v_add_f64_e32 v[8:9], v[8:9], v[254:255]
	s_delay_alu instid0(VALU_DEP_3) | instskip(NEXT) | instid1(VALU_DEP_1)
	v_fma_f64 v[254:255], v[252:253], s[22:23], v[174:175]
	v_add_f64_e32 v[52:53], v[254:255], v[52:53]
	v_fma_f64 v[254:255], v[22:23], s[2:3], -v[12:13]
	v_fma_f64 v[12:13], v[22:23], s[2:3], v[12:13]
	s_delay_alu instid0(VALU_DEP_2) | instskip(SKIP_1) | instid1(VALU_DEP_1)
	v_add_f64_e32 v[8:9], v[254:255], v[8:9]
	v_mul_f64_e32 v[254:255], s[16:17], v[162:163]
	v_fma_f64 v[242:243], v[32:33], s[2:3], v[254:255]
	s_delay_alu instid0(VALU_DEP_1) | instskip(SKIP_2) | instid1(VALU_DEP_2)
	v_add_f64_e32 v[52:53], v[242:243], v[52:53]
	v_fma_f64 v[242:243], v[34:35], s[26:27], -v[24:25]
	v_fma_f64 v[24:25], v[34:35], s[26:27], v[24:25]
	v_add_f64_e32 v[8:9], v[242:243], v[8:9]
	v_mul_f64_e32 v[242:243], s[38:39], v[70:71]
	scratch_load_b64 v[70:71], off, off offset:832 th:TH_LOAD_LU ; 8-byte Folded Reload
	v_fma_f64 v[228:229], v[18:19], s[26:27], v[242:243]
	s_delay_alu instid0(VALU_DEP_1) | instskip(SKIP_2) | instid1(VALU_DEP_2)
	v_add_f64_e32 v[52:53], v[228:229], v[52:53]
	v_fma_f64 v[228:229], v[88:89], s[20:21], -v[28:29]
	v_fma_f64 v[28:29], v[88:89], s[20:21], v[28:29]
	v_add_f64_e32 v[8:9], v[228:229], v[8:9]
	v_mul_f64_e32 v[228:229], s[46:47], v[10:11]
	v_mul_f64_e32 v[10:11], s[18:19], v[30:31]
	;; [unrolled: 1-line block ×3, first 2 shown]
	s_delay_alu instid0(VALU_DEP_3) | instskip(NEXT) | instid1(VALU_DEP_1)
	v_fma_f64 v[6:7], v[58:59], s[20:21], v[228:229]
	v_add_f64_e32 v[6:7], v[6:7], v[52:53]
	v_fma_f64 v[52:53], v[236:237], s[10:11], -v[36:37]
	s_delay_alu instid0(VALU_DEP_1) | instskip(SKIP_2) | instid1(VALU_DEP_2)
	v_add_f64_e32 v[8:9], v[52:53], v[8:9]
	v_fma_f64 v[52:53], v[60:61], s[10:11], v[10:11]
	v_fma_f64 v[10:11], v[60:61], s[10:11], -v[10:11]
	v_add_f64_e32 v[6:7], v[52:53], v[6:7]
	v_fma_f64 v[52:53], v[4:5], s[28:29], -v[40:41]
	s_delay_alu instid0(VALU_DEP_1) | instskip(SKIP_1) | instid1(VALU_DEP_1)
	v_add_f64_e32 v[8:9], v[52:53], v[8:9]
	v_fma_f64 v[52:53], v[68:69], s[28:29], v[30:31]
	v_add_f64_e32 v[6:7], v[52:53], v[6:7]
	v_fma_f64 v[52:53], v[2:3], s[14:15], -v[42:43]
	s_delay_alu instid0(VALU_DEP_1) | instskip(SKIP_1) | instid1(VALU_DEP_1)
	v_add_f64_e32 v[8:9], v[52:53], v[8:9]
	v_fma_f64 v[52:53], v[16:17], s[14:15], v[38:39]
	v_add_f64_e32 v[6:7], v[52:53], v[6:7]
	v_fma_f64 v[52:53], v[20:21], s[22:23], v[146:147]
	v_fma_f64 v[146:147], v[252:253], s[22:23], -v[174:175]
	s_wait_loadcnt 0x0
	s_delay_alu instid0(VALU_DEP_2) | instskip(SKIP_3) | instid1(VALU_DEP_2)
	v_add_f64_e32 v[52:53], v[52:53], v[70:71]
	scratch_load_b64 v[70:71], off, off offset:824 th:TH_LOAD_LU ; 8-byte Folded Reload
	v_add_f64_e32 v[12:13], v[12:13], v[52:53]
	v_fma_f64 v[52:53], v[32:33], s[2:3], -v[254:255]
	v_add_f64_e32 v[12:13], v[24:25], v[12:13]
	v_fma_f64 v[24:25], v[18:19], s[26:27], -v[242:243]
	s_delay_alu instid0(VALU_DEP_2) | instskip(SKIP_3) | instid1(VALU_DEP_1)
	v_add_f64_e32 v[12:13], v[28:29], v[12:13]
	v_fma_f64 v[28:29], v[58:59], s[20:21], -v[228:229]
	s_wait_loadcnt 0x0
	v_add_f64_e32 v[146:147], v[146:147], v[70:71]
	v_add_f64_e32 v[52:53], v[52:53], v[146:147]
	s_delay_alu instid0(VALU_DEP_1) | instskip(NEXT) | instid1(VALU_DEP_1)
	v_add_f64_e32 v[24:25], v[24:25], v[52:53]
	v_add_f64_e32 v[24:25], v[28:29], v[24:25]
	v_fma_f64 v[28:29], v[236:237], s[10:11], v[36:37]
	v_fma_f64 v[36:37], v[16:17], s[10:11], -v[72:73]
	s_delay_alu instid0(VALU_DEP_3) | instskip(NEXT) | instid1(VALU_DEP_3)
	v_add_f64_e32 v[10:11], v[10:11], v[24:25]
	v_add_f64_e32 v[12:13], v[28:29], v[12:13]
	v_fma_f64 v[24:25], v[4:5], s[28:29], v[40:41]
	v_fma_f64 v[28:29], v[16:17], s[14:15], -v[38:39]
	v_fma_f64 v[38:39], v[22:23], s[28:29], v[96:97]
	v_fma_f64 v[40:41], v[16:17], s[26:27], -v[86:87]
	s_delay_alu instid0(VALU_DEP_4) | instskip(SKIP_4) | instid1(VALU_DEP_2)
	v_add_f64_e32 v[12:13], v[24:25], v[12:13]
	v_fma_f64 v[24:25], v[68:69], s[28:29], -v[30:31]
	scratch_load_b64 v[30:31], off, off offset:792 th:TH_LOAD_LU ; 8-byte Folded Reload
	v_add_f64_e32 v[10:11], v[24:25], v[10:11]
	v_fma_f64 v[24:25], v[2:3], s[14:15], v[42:43]
	v_add_f64_e32 v[10:11], v[28:29], v[10:11]
	scratch_load_b64 v[28:29], off, off offset:800 th:TH_LOAD_LU ; 8-byte Folded Reload
	v_add_f64_e32 v[12:13], v[24:25], v[12:13]
	v_fma_f64 v[24:25], v[20:21], s[26:27], v[74:75]
	scratch_load_b128 v[72:75], off, off offset:644 ; 16-byte Folded Reload
	s_wait_loadcnt 0x1
	v_add_f64_e32 v[24:25], v[24:25], v[28:29]
	v_fma_f64 v[28:29], v[252:253], s[26:27], -v[144:145]
	v_mov_b32_e32 v144, v200
	v_dual_mov_b32 v146, v202 :: v_dual_mov_b32 v145, v201
	v_mov_b32_e32 v147, v203
	s_delay_alu instid0(VALU_DEP_4) | instskip(SKIP_1) | instid1(VALU_DEP_1)
	v_add_f64_e32 v[28:29], v[28:29], v[30:31]
	v_fma_f64 v[30:31], v[22:23], s[10:11], v[224:225]
	v_add_f64_e32 v[24:25], v[30:31], v[24:25]
	v_fma_f64 v[30:31], v[32:33], s[10:11], -v[148:149]
	s_delay_alu instid0(VALU_DEP_1) | instskip(SKIP_3) | instid1(VALU_DEP_3)
	v_add_f64_e32 v[28:29], v[30:31], v[28:29]
	v_fma_f64 v[30:31], v[34:35], s[14:15], v[150:151]
	v_dual_mov_b32 v151, v83 :: v_dual_mov_b32 v150, v82
	v_dual_mov_b32 v149, v81 :: v_dual_mov_b32 v148, v80
	v_add_f64_e32 v[24:25], v[30:31], v[24:25]
	v_fma_f64 v[30:31], v[18:19], s[14:15], -v[156:157]
	s_delay_alu instid0(VALU_DEP_1)
	v_add_f64_e32 v[28:29], v[30:31], v[28:29]
	v_fma_f64 v[30:31], v[88:89], s[28:29], v[158:159]
	v_mov_b32_e32 v156, v184
	v_dual_mov_b32 v158, v186 :: v_dual_mov_b32 v157, v185
	v_dual_mov_b32 v159, v187 :: v_dual_mov_b32 v184, v188
	;; [unrolled: 1-line block ×3, first 2 shown]
	v_mov_b32_e32 v187, v191
	v_mov_b32_e32 v191, v51
	v_dual_mov_b32 v189, v49 :: v_dual_mov_b32 v190, v50
	v_mov_b32_e32 v188, v48
	v_add_f64_e32 v[14:15], v[14:15], v[28:29]
	v_add_f64_e32 v[24:25], v[30:31], v[24:25]
	v_fma_f64 v[28:29], v[236:237], s[20:21], v[164:165]
	scratch_load_b64 v[30:31], off, off offset:776 th:TH_LOAD_LU ; 8-byte Folded Reload
	v_add_f64_e32 v[14:15], v[26:27], v[14:15]
	v_fma_f64 v[26:27], v[4:5], s[2:3], v[168:169]
	v_add_f64_e32 v[24:25], v[28:29], v[24:25]
	v_fma_f64 v[28:29], v[16:17], s[24:25], -v[166:167]
	v_dual_mov_b32 v164, v238 :: v_dual_mov_b32 v165, v239
	v_dual_mov_b32 v167, v241 :: v_dual_mov_b32 v166, v240
	s_delay_alu instid0(VALU_DEP_4)
	v_add_f64_e32 v[24:25], v[26:27], v[24:25]
	v_fma_f64 v[26:27], v[68:69], s[2:3], -v[170:171]
	v_dual_mov_b32 v168, v192 :: v_dual_mov_b32 v169, v193
	v_dual_mov_b32 v170, v194 :: v_dual_mov_b32 v171, v195
	;; [unrolled: 1-line block ×4, first 2 shown]
	v_add_f64_e32 v[14:15], v[26:27], v[14:15]
	v_fma_f64 v[26:27], v[2:3], s[24:25], v[172:173]
	v_dual_mov_b32 v175, v47 :: v_dual_mov_b32 v174, v46
	v_dual_mov_b32 v173, v45 :: v_dual_mov_b32 v172, v44
	s_delay_alu instid0(VALU_DEP_3) | instskip(SKIP_4) | instid1(VALU_DEP_1)
	v_add_f64_e32 v[26:27], v[26:27], v[24:25]
	v_add_f64_e32 v[24:25], v[28:29], v[14:15]
	scratch_load_b64 v[28:29], off, off offset:784 th:TH_LOAD_LU ; 8-byte Folded Reload
	v_fma_f64 v[14:15], v[20:21], s[28:29], v[94:95]
	s_wait_loadcnt 0x0
	v_add_f64_e32 v[14:15], v[14:15], v[28:29]
	v_fma_f64 v[28:29], v[252:253], s[28:29], -v[118:119]
	s_delay_alu instid0(VALU_DEP_1) | instskip(SKIP_2) | instid1(VALU_DEP_2)
	v_add_f64_e32 v[28:29], v[28:29], v[30:31]
	v_fma_f64 v[30:31], v[22:23], s[22:23], v[120:121]
	v_fma_f64 v[22:23], v[22:23], s[24:25], v[234:235]
	v_add_f64_e32 v[14:15], v[30:31], v[14:15]
	v_fma_f64 v[30:31], v[32:33], s[22:23], -v[122:123]
	s_delay_alu instid0(VALU_DEP_1) | instskip(SKIP_1) | instid1(VALU_DEP_1)
	v_add_f64_e32 v[28:29], v[30:31], v[28:29]
	v_fma_f64 v[30:31], v[34:35], s[2:3], v[124:125]
	v_add_f64_e32 v[14:15], v[30:31], v[14:15]
	v_fma_f64 v[30:31], v[18:19], s[2:3], -v[126:127]
	s_delay_alu instid0(VALU_DEP_1) | instskip(SKIP_1) | instid1(VALU_DEP_1)
	v_add_f64_e32 v[28:29], v[30:31], v[28:29]
	v_fma_f64 v[30:31], v[88:89], s[14:15], v[128:129]
	v_add_f64_e32 v[14:15], v[30:31], v[14:15]
	v_fma_f64 v[30:31], v[58:59], s[14:15], -v[130:131]
	s_delay_alu instid0(VALU_DEP_1) | instskip(SKIP_4) | instid1(VALU_DEP_1)
	v_add_f64_e32 v[28:29], v[30:31], v[28:29]
	v_fma_f64 v[30:31], v[236:237], s[26:27], v[0:1]
	scratch_load_b64 v[0:1], off, off offset:752 th:TH_LOAD_LU ; 8-byte Folded Reload
	v_add_f64_e32 v[14:15], v[30:31], v[14:15]
	v_fma_f64 v[30:31], v[60:61], s[26:27], -v[132:133]
	v_add_f64_e32 v[28:29], v[30:31], v[28:29]
	v_fma_f64 v[30:31], v[4:5], s[24:25], v[134:135]
	s_delay_alu instid0(VALU_DEP_1) | instskip(SKIP_1) | instid1(VALU_DEP_1)
	v_add_f64_e32 v[14:15], v[30:31], v[14:15]
	v_fma_f64 v[30:31], v[68:69], s[24:25], -v[140:141]
	v_add_f64_e32 v[28:29], v[30:31], v[28:29]
	v_fma_f64 v[30:31], v[2:3], s[10:11], v[142:143]
	v_dual_mov_b32 v140, v196 :: v_dual_mov_b32 v141, v197
	v_dual_mov_b32 v142, v198 :: v_dual_mov_b32 v143, v199
	v_mov_b32_e32 v199, v155
	v_dual_mov_b32 v197, v153 :: v_dual_mov_b32 v198, v154
	v_mov_b32_e32 v196, v152
	v_add_f64_e32 v[28:29], v[36:37], v[28:29]
	v_add_f64_e32 v[30:31], v[30:31], v[14:15]
	v_fma_f64 v[14:15], v[20:21], s[24:25], v[78:79]
	v_fma_f64 v[36:37], v[252:253], s[24:25], -v[92:93]
	s_wait_loadcnt 0x0
	s_delay_alu instid0(VALU_DEP_2)
	v_add_f64_e32 v[14:15], v[14:15], v[0:1]
	scratch_load_b64 v[0:1], off, off offset:744 th:TH_LOAD_LU ; 8-byte Folded Reload
	v_add_f64_e32 v[14:15], v[38:39], v[14:15]
	v_fma_f64 v[38:39], v[32:33], s[28:29], -v[98:99]
	s_wait_loadcnt 0x0
	v_add_f64_e32 v[36:37], v[36:37], v[0:1]
	scratch_load_b64 v[0:1], off, off offset:840 th:TH_LOAD_LU ; 8-byte Folded Reload
	v_add_f64_e32 v[36:37], v[38:39], v[36:37]
	v_fma_f64 v[38:39], v[34:35], s[22:23], v[100:101]
	v_fma_f64 v[34:35], v[34:35], s[28:29], v[230:231]
	s_delay_alu instid0(VALU_DEP_2) | instskip(SKIP_1) | instid1(VALU_DEP_1)
	v_add_f64_e32 v[14:15], v[38:39], v[14:15]
	v_fma_f64 v[38:39], v[18:19], s[22:23], -v[102:103]
	v_add_f64_e32 v[36:37], v[38:39], v[36:37]
	v_fma_f64 v[38:39], v[88:89], s[10:11], v[62:63]
	s_delay_alu instid0(VALU_DEP_1) | instskip(SKIP_1) | instid1(VALU_DEP_1)
	v_add_f64_e32 v[14:15], v[38:39], v[14:15]
	v_fma_f64 v[38:39], v[58:59], s[10:11], -v[90:91]
	v_add_f64_e32 v[36:37], v[38:39], v[36:37]
	v_fma_f64 v[38:39], v[236:237], s[2:3], v[104:105]
	s_delay_alu instid0(VALU_DEP_1)
	v_add_f64_e32 v[14:15], v[38:39], v[14:15]
	v_fma_f64 v[38:39], v[60:61], s[2:3], -v[106:107]
	v_mov_b32_e32 v104, v176
	v_dual_mov_b32 v106, v178 :: v_dual_mov_b32 v105, v177
	v_mov_b32_e32 v107, v179
	v_mov_b32_e32 v179, v57
	v_dual_mov_b32 v177, v55 :: v_dual_mov_b32 v178, v56
	v_mov_b32_e32 v176, v54
	v_add_f64_e32 v[36:37], v[38:39], v[36:37]
	v_fma_f64 v[38:39], v[4:5], s[20:21], v[111:112]
	scratch_load_b32 v111, off, off offset:660 ; 4-byte Folded Reload
	v_mov_b32_e32 v112, v109
	v_add_f64_e32 v[14:15], v[38:39], v[14:15]
	v_fma_f64 v[38:39], v[68:69], s[20:21], -v[114:115]
	s_delay_alu instid0(VALU_DEP_1) | instskip(SKIP_1) | instid1(VALU_DEP_2)
	v_add_f64_e32 v[36:37], v[38:39], v[36:37]
	v_fma_f64 v[38:39], v[2:3], s[26:27], v[116:117]
	v_add_f64_e32 v[36:37], v[40:41], v[36:37]
	s_delay_alu instid0(VALU_DEP_2)
	v_add_f64_e32 v[38:39], v[38:39], v[14:15]
	s_wait_loadcnt 0x1
	v_fma_f64 v[14:15], v[20:21], s[20:21], v[0:1]
	scratch_load_b64 v[0:1], off, off offset:848 th:TH_LOAD_LU ; 8-byte Folded Reload
	s_wait_loadcnt 0x0
	v_fma_f64 v[20:21], v[252:253], s[20:21], -v[0:1]
	v_dual_mov_b32 v0, v32 :: v_dual_mov_b32 v1, v33
	scratch_load_b64 v[32:33], off, off offset:720 th:TH_LOAD_LU ; 8-byte Folded Reload
	s_wait_loadcnt 0x0
	v_add_f64_e32 v[14:15], v[14:15], v[32:33]
	v_fma_f64 v[32:33], v[0:1], s[24:25], -v[160:161]
	s_clause 0x1
	scratch_load_b128 v[80:83], off, off offset:664
	scratch_load_b64 v[0:1], off, off offset:712 th:TH_LOAD_LU
	v_add_f64_e32 v[14:15], v[22:23], v[14:15]
	v_fma_f64 v[22:23], v[18:19], s[28:29], -v[232:233]
	s_delay_alu instid0(VALU_DEP_2)
	v_add_f64_e32 v[14:15], v[34:35], v[14:15]
	v_fma_f64 v[34:35], v[58:59], s[26:27], -v[246:247]
	s_wait_loadcnt 0x0
	v_add_f64_e32 v[20:21], v[20:21], v[0:1]
	v_fma_f64 v[0:1], v[4:5], s[14:15], v[76:77]
	v_fma_f64 v[4:5], v[2:3], s[2:3], v[226:227]
	s_delay_alu instid0(VALU_DEP_3) | instskip(SKIP_1) | instid1(VALU_DEP_2)
	v_add_f64_e32 v[20:21], v[32:33], v[20:21]
	v_fma_f64 v[32:33], v[88:89], s[26:27], v[244:245]
	v_add_f64_e32 v[20:21], v[22:23], v[20:21]
	v_fma_f64 v[22:23], v[236:237], s[22:23], v[248:249]
	s_delay_alu instid0(VALU_DEP_3) | instskip(SKIP_1) | instid1(VALU_DEP_4)
	v_add_f64_e32 v[14:15], v[32:33], v[14:15]
	v_fma_f64 v[32:33], v[60:61], s[22:23], -v[250:251]
	v_add_f64_e32 v[20:21], v[34:35], v[20:21]
	s_delay_alu instid0(VALU_DEP_3) | instskip(SKIP_1) | instid1(VALU_DEP_3)
	v_add_f64_e32 v[14:15], v[22:23], v[14:15]
	v_fma_f64 v[22:23], v[68:69], s[14:15], -v[66:67]
	v_add_f64_e32 v[20:21], v[32:33], v[20:21]
	s_delay_alu instid0(VALU_DEP_3) | instskip(SKIP_1) | instid1(VALU_DEP_3)
	v_add_f64_e32 v[0:1], v[0:1], v[14:15]
	v_fma_f64 v[14:15], v[16:17], s[2:3], -v[64:65]
	v_add_f64_e32 v[20:21], v[22:23], v[20:21]
	s_delay_alu instid0(VALU_DEP_3)
	v_add_f64_e32 v[2:3], v[4:5], v[0:1]
	scratch_load_b32 v4, off, off offset:8  ; 4-byte Folded Reload
	v_add_f64_e32 v[0:1], v[14:15], v[20:21]
	scratch_load_b128 v[14:17], off, off offset:680 th:TH_LOAD_LU ; 16-byte Folded Reload
	s_wait_loadcnt 0x1
	v_mul_lo_u16 v4, v4, 17
	s_delay_alu instid0(VALU_DEP_1) | instskip(NEXT) | instid1(VALU_DEP_1)
	v_dual_mov_b32 v109, v113 :: v_dual_and_b32 v4, 0xffff, v4
	v_lshlrev_b32_e32 v4, 4, v4
	s_wait_loadcnt 0x0
	ds_store_b128 v4, v[14:17]
	ds_store_b128 v4, v[204:207] offset:16
	ds_store_b128 v4, v[208:211] offset:32
	;; [unrolled: 1-line block ×6, first 2 shown]
	scratch_load_b128 v[5:8], off, off offset:808 th:TH_LOAD_LU ; 16-byte Folded Reload
	s_wait_loadcnt 0x0
	ds_store_b128 v4, v[5:8] offset:112
	scratch_load_b128 v[5:8], off, off offset:728 th:TH_LOAD_LU ; 16-byte Folded Reload
	s_wait_loadcnt 0x0
	ds_store_b128 v4, v[5:8] offset:128
	;; [unrolled: 3-line block ×4, first 2 shown]
	ds_store_b128 v4, v[10:13] offset:176
	ds_store_b128 v4, v[24:27] offset:192
	;; [unrolled: 1-line block ×6, first 2 shown]
.LBB0_17:
	s_wait_alu 0xfffe
	s_or_b32 exec_lo, exec_lo, s1
	global_wb scope:SCOPE_SE
	s_wait_storecnt_dscnt 0x0
	s_barrier_signal -1
	s_barrier_wait -1
	global_inv scope:SCOPE_SE
	ds_load_b128 v[0:3], v110 offset:15232
	ds_load_b128 v[4:7], v110 offset:17136
	scratch_load_b128 v[10:13], off, off offset:60 th:TH_LOAD_LU ; 16-byte Folded Reload
	s_wait_loadcnt_dscnt 0x1
	v_mul_f64_e32 v[8:9], v[12:13], v[2:3]
	s_delay_alu instid0(VALU_DEP_1)
	v_fma_f64 v[8:9], v[10:11], v[0:1], v[8:9]
	v_mul_f64_e32 v[0:1], v[12:13], v[0:1]
	scratch_load_b128 v[12:15], off, off offset:44 th:TH_LOAD_LU ; 16-byte Folded Reload
	v_fma_f64 v[10:11], v[10:11], v[2:3], -v[0:1]
	s_wait_loadcnt_dscnt 0x0
	v_mul_f64_e32 v[0:1], v[14:15], v[6:7]
	s_delay_alu instid0(VALU_DEP_1) | instskip(SKIP_1) | instid1(VALU_DEP_1)
	v_fma_f64 v[36:37], v[12:13], v[4:5], v[0:1]
	v_mul_f64_e32 v[0:1], v[14:15], v[4:5]
	v_fma_f64 v[38:39], v[12:13], v[6:7], -v[0:1]
	ds_load_b128 v[0:3], v110 offset:19040
	ds_load_b128 v[4:7], v110 offset:20944
	scratch_load_b128 v[14:17], off, off offset:156 th:TH_LOAD_LU ; 16-byte Folded Reload
	s_wait_loadcnt_dscnt 0x1
	v_mul_f64_e32 v[12:13], v[16:17], v[2:3]
	s_delay_alu instid0(VALU_DEP_1) | instskip(SKIP_1) | instid1(VALU_DEP_1)
	v_fma_f64 v[40:41], v[14:15], v[0:1], v[12:13]
	v_mul_f64_e32 v[0:1], v[16:17], v[0:1]
	v_fma_f64 v[42:43], v[14:15], v[2:3], -v[0:1]
	scratch_load_b128 v[12:15], off, off offset:140 th:TH_LOAD_LU ; 16-byte Folded Reload
	s_wait_loadcnt_dscnt 0x0
	v_mul_f64_e32 v[0:1], v[14:15], v[6:7]
	s_delay_alu instid0(VALU_DEP_1) | instskip(SKIP_1) | instid1(VALU_DEP_1)
	v_fma_f64 v[44:45], v[12:13], v[4:5], v[0:1]
	v_mul_f64_e32 v[0:1], v[14:15], v[4:5]
	v_fma_f64 v[46:47], v[12:13], v[6:7], -v[0:1]
	ds_load_b128 v[0:3], v110 offset:22848
	ds_load_b128 v[4:7], v110 offset:24752
	scratch_load_b128 v[14:17], off, off offset:124 th:TH_LOAD_LU ; 16-byte Folded Reload
	s_wait_loadcnt_dscnt 0x1
	v_mul_f64_e32 v[12:13], v[16:17], v[2:3]
	s_delay_alu instid0(VALU_DEP_1) | instskip(SKIP_1) | instid1(VALU_DEP_1)
	v_fma_f64 v[48:49], v[14:15], v[0:1], v[12:13]
	v_mul_f64_e32 v[0:1], v[16:17], v[0:1]
	v_fma_f64 v[50:51], v[14:15], v[2:3], -v[0:1]
	scratch_load_b128 v[12:15], off, off offset:108 th:TH_LOAD_LU ; 16-byte Folded Reload
	;; [unrolled: 16-line block ×3, first 2 shown]
	s_wait_loadcnt_dscnt 0x0
	v_mul_f64_e32 v[0:1], v[14:15], v[6:7]
	s_delay_alu instid0(VALU_DEP_1) | instskip(SKIP_1) | instid1(VALU_DEP_1)
	v_fma_f64 v[60:61], v[12:13], v[4:5], v[0:1]
	v_mul_f64_e32 v[0:1], v[14:15], v[4:5]
	v_fma_f64 v[62:63], v[12:13], v[6:7], -v[0:1]
	ds_load_b128 v[0:3], v110
	ds_load_b128 v[4:7], v110 offset:1904
	ds_load_b128 v[12:15], v110 offset:3808
	;; [unrolled: 1-line block ×7, first 2 shown]
	global_wb scope:SCOPE_SE
	s_wait_dscnt 0x0
	s_barrier_signal -1
	s_barrier_wait -1
	global_inv scope:SCOPE_SE
	scratch_load_b32 v64, off, off offset:316 th:TH_LOAD_LU ; 4-byte Folded Reload
	v_add_f64_e64 v[8:9], v[0:1], -v[8:9]
	v_add_f64_e64 v[10:11], v[2:3], -v[10:11]
	s_delay_alu instid0(VALU_DEP_2) | instskip(NEXT) | instid1(VALU_DEP_2)
	v_fma_f64 v[0:1], v[0:1], 2.0, -v[8:9]
	v_fma_f64 v[2:3], v[2:3], 2.0, -v[10:11]
	s_wait_loadcnt 0x0
	ds_store_b128 v64, v[8:11] offset:272
	ds_store_b128 v64, v[0:3]
	scratch_load_b32 v8, off, off offset:328 th:TH_LOAD_LU ; 4-byte Folded Reload
	v_add_f64_e64 v[0:1], v[4:5], -v[36:37]
	v_add_f64_e64 v[2:3], v[6:7], -v[38:39]
	;; [unrolled: 1-line block ×3, first 2 shown]
	s_delay_alu instid0(VALU_DEP_3) | instskip(NEXT) | instid1(VALU_DEP_3)
	v_fma_f64 v[4:5], v[4:5], 2.0, -v[0:1]
	v_fma_f64 v[6:7], v[6:7], 2.0, -v[2:3]
	s_wait_loadcnt 0x0
	ds_store_b128 v8, v[4:7]
	ds_store_b128 v8, v[0:3] offset:272
	scratch_load_b32 v8, off, off offset:324 th:TH_LOAD_LU ; 4-byte Folded Reload
	v_add_f64_e64 v[0:1], v[12:13], -v[40:41]
	v_add_f64_e64 v[2:3], v[14:15], -v[42:43]
	s_delay_alu instid0(VALU_DEP_2) | instskip(NEXT) | instid1(VALU_DEP_2)
	v_fma_f64 v[4:5], v[12:13], 2.0, -v[0:1]
	v_fma_f64 v[6:7], v[14:15], 2.0, -v[2:3]
	;; [unrolled: 1-line block ×3, first 2 shown]
	s_wait_loadcnt 0x0
	ds_store_b128 v8, v[4:7]
	ds_store_b128 v8, v[0:3] offset:272
	scratch_load_b32 v8, off, off offset:320 th:TH_LOAD_LU ; 4-byte Folded Reload
	v_add_f64_e64 v[0:1], v[16:17], -v[44:45]
	v_add_f64_e64 v[2:3], v[18:19], -v[46:47]
	s_delay_alu instid0(VALU_DEP_2) | instskip(NEXT) | instid1(VALU_DEP_2)
	v_fma_f64 v[4:5], v[16:17], 2.0, -v[0:1]
	v_fma_f64 v[6:7], v[18:19], 2.0, -v[2:3]
	v_add_f64_e64 v[16:17], v[32:33], -v[60:61]
	v_add_f64_e64 v[18:19], v[34:35], -v[62:63]
	s_wait_loadcnt 0x0
	ds_store_b128 v8, v[4:7]
	ds_store_b128 v8, v[0:3] offset:272
	scratch_load_b32 v8, off, off offset:312 th:TH_LOAD_LU ; 4-byte Folded Reload
	v_add_f64_e64 v[0:1], v[20:21], -v[48:49]
	v_add_f64_e64 v[2:3], v[22:23], -v[50:51]
	s_delay_alu instid0(VALU_DEP_2) | instskip(NEXT) | instid1(VALU_DEP_2)
	v_fma_f64 v[4:5], v[20:21], 2.0, -v[0:1]
	v_fma_f64 v[6:7], v[22:23], 2.0, -v[2:3]
	;; [unrolled: 1-line block ×4, first 2 shown]
	s_wait_loadcnt 0x0
	ds_store_b128 v8, v[4:7]
	ds_store_b128 v8, v[0:3] offset:272
	v_add_f64_e64 v[0:1], v[24:25], -v[52:53]
	v_add_f64_e64 v[2:3], v[26:27], -v[54:55]
	;; [unrolled: 1-line block ×3, first 2 shown]
	s_delay_alu instid0(VALU_DEP_3)
	v_fma_f64 v[4:5], v[24:25], 2.0, -v[0:1]
	scratch_load_b32 v24, off, off offset:308 th:TH_LOAD_LU ; 4-byte Folded Reload
	v_fma_f64 v[6:7], v[26:27], 2.0, -v[2:3]
	v_fma_f64 v[12:13], v[28:29], 2.0, -v[8:9]
	s_wait_loadcnt 0x0
	ds_store_b128 v24, v[4:7]
	ds_store_b128 v24, v[0:3] offset:272
	scratch_load_b32 v0, off, off offset:304 th:TH_LOAD_LU ; 4-byte Folded Reload
	s_wait_loadcnt 0x0
	ds_store_b128 v0, v[12:15]
	ds_store_b128 v0, v[8:11] offset:272
	scratch_load_b32 v0, off, off offset:300 th:TH_LOAD_LU ; 4-byte Folded Reload
	s_wait_loadcnt 0x0
	ds_store_b128 v0, v[20:23]
	ds_store_b128 v0, v[16:19] offset:272
	global_wb scope:SCOPE_SE
	s_wait_dscnt 0x0
	s_barrier_signal -1
	s_barrier_wait -1
	global_inv scope:SCOPE_SE
	ds_load_b128 v[0:3], v110 offset:15232
	ds_load_b128 v[4:7], v110 offset:17136
	s_clause 0x2
	scratch_load_b128 v[26:29], off, off offset:252 th:TH_LOAD_LU
	scratch_load_b128 v[30:33], off, off offset:232 th:TH_LOAD_LU
	scratch_load_b128 v[34:37], off, off offset:204 th:TH_LOAD_LU
	ds_load_b128 v[8:11], v110 offset:19040
	ds_load_b128 v[12:15], v110 offset:20944
	scratch_load_b128 v[46:49], off, off offset:188 th:TH_LOAD_LU ; 16-byte Folded Reload
	s_wait_loadcnt_dscnt 0x303
	v_mul_f64_e32 v[16:17], v[28:29], v[2:3]
	v_mul_f64_e32 v[18:19], v[28:29], v[0:1]
	s_wait_loadcnt_dscnt 0x202
	v_mul_f64_e32 v[20:21], v[32:33], v[6:7]
	v_mul_f64_e32 v[22:23], v[32:33], v[4:5]
	s_wait_loadcnt_dscnt 0x101
	v_mul_f64_e32 v[24:25], v[36:37], v[10:11]
	v_fma_f64 v[16:17], v[26:27], v[0:1], v[16:17]
	v_fma_f64 v[18:19], v[26:27], v[2:3], -v[18:19]
	v_mul_f64_e32 v[26:27], v[36:37], v[8:9]
	v_fma_f64 v[36:37], v[30:31], v[4:5], v[20:21]
	v_fma_f64 v[38:39], v[30:31], v[6:7], -v[22:23]
	scratch_load_b128 v[30:33], off, off offset:172 th:TH_LOAD_LU ; 16-byte Folded Reload
	ds_load_b128 v[0:3], v110 offset:22848
	ds_load_b128 v[4:7], v110 offset:24752
	s_wait_loadcnt_dscnt 0x102
	v_mul_f64_e32 v[28:29], v[48:49], v[14:15]
	v_mul_f64_e32 v[20:21], v[48:49], v[12:13]
	v_fma_f64 v[40:41], v[34:35], v[8:9], v[24:25]
	v_fma_f64 v[42:43], v[34:35], v[10:11], -v[26:27]
	ds_load_b128 v[8:11], v110
	s_wait_dscnt 0x1
	v_mul_f64_e32 v[26:27], v[82:83], v[6:7]
	v_fma_f64 v[44:45], v[46:47], v[12:13], v[28:29]
	v_fma_f64 v[46:47], v[46:47], v[14:15], -v[20:21]
	ds_load_b128 v[12:15], v110 offset:1904
	v_mul_f64_e32 v[28:29], v[82:83], v[4:5]
	s_wait_dscnt 0x1
	v_add_f64_e64 v[16:17], v[8:9], -v[16:17]
	v_add_f64_e64 v[18:19], v[10:11], -v[18:19]
	v_fma_f64 v[52:53], v[80:81], v[4:5], v[26:27]
	s_delay_alu instid0(VALU_DEP_4) | instskip(NEXT) | instid1(VALU_DEP_4)
	v_fma_f64 v[54:55], v[80:81], v[6:7], -v[28:29]
	v_fma_f64 v[4:5], v[8:9], 2.0, -v[16:17]
	s_delay_alu instid0(VALU_DEP_4) | instskip(SKIP_3) | instid1(VALU_DEP_2)
	v_fma_f64 v[6:7], v[10:11], 2.0, -v[18:19]
	s_wait_loadcnt 0x0
	v_mul_f64_e32 v[22:23], v[32:33], v[2:3]
	v_mul_f64_e32 v[24:25], v[32:33], v[0:1]
	v_fma_f64 v[48:49], v[30:31], v[0:1], v[22:23]
	s_delay_alu instid0(VALU_DEP_2)
	v_fma_f64 v[50:51], v[30:31], v[2:3], -v[24:25]
	ds_load_b128 v[0:3], v110 offset:26656
	ds_load_b128 v[20:23], v110 offset:28560
	scratch_load_b128 v[30:33], off, off offset:540 th:TH_LOAD_LU ; 16-byte Folded Reload
	s_wait_dscnt 0x0
	v_mul_f64_e32 v[28:29], v[74:75], v[22:23]
	v_mul_f64_e32 v[8:9], v[74:75], v[20:21]
	s_delay_alu instid0(VALU_DEP_2) | instskip(NEXT) | instid1(VALU_DEP_2)
	v_fma_f64 v[60:61], v[72:73], v[20:21], v[28:29]
	v_fma_f64 v[62:63], v[72:73], v[22:23], -v[8:9]
	s_wait_loadcnt 0x0
	v_mul_f64_e32 v[24:25], v[32:33], v[2:3]
	v_mul_f64_e32 v[26:27], v[32:33], v[0:1]
	s_delay_alu instid0(VALU_DEP_2) | instskip(NEXT) | instid1(VALU_DEP_2)
	v_fma_f64 v[56:57], v[30:31], v[0:1], v[24:25]
	v_fma_f64 v[58:59], v[30:31], v[2:3], -v[26:27]
	ds_load_b128 v[0:3], v110 offset:3808
	ds_load_b128 v[8:11], v110 offset:5712
	;; [unrolled: 1-line block ×6, first 2 shown]
	global_wb scope:SCOPE_SE
	s_wait_dscnt 0x0
	s_barrier_signal -1
	s_barrier_wait -1
	global_inv scope:SCOPE_SE
	scratch_load_b32 v64, off, off offset:224 th:TH_LOAD_LU ; 4-byte Folded Reload
	s_wait_loadcnt 0x0
	ds_store_b128 v64, v[16:19] offset:544
	ds_store_b128 v64, v[4:7]
	v_add_f64_e64 v[16:17], v[12:13], -v[36:37]
	v_add_f64_e64 v[36:37], v[0:1], -v[40:41]
	;; [unrolled: 1-line block ×14, first 2 shown]
	v_fma_f64 v[12:13], v[12:13], 2.0, -v[16:17]
	v_fma_f64 v[56:57], v[0:1], 2.0, -v[36:37]
	;; [unrolled: 1-line block ×3, first 2 shown]
	scratch_load_b32 v32, off, off offset:280 th:TH_LOAD_LU ; 4-byte Folded Reload
	v_fma_f64 v[8:9], v[8:9], 2.0, -v[40:41]
	v_fma_f64 v[20:21], v[20:21], 2.0, -v[44:45]
	;; [unrolled: 1-line block ×11, first 2 shown]
	s_wait_loadcnt 0x0
	ds_store_b128 v32, v[12:15]
	ds_store_b128 v32, v[16:19] offset:544
	scratch_load_b32 v12, off, off offset:276 th:TH_LOAD_LU ; 4-byte Folded Reload
	s_wait_loadcnt 0x0
	ds_store_b128 v12, v[56:59]
	ds_store_b128 v12, v[36:39] offset:544
	scratch_load_b32 v12, off, off offset:272 th:TH_LOAD_LU ; 4-byte Folded Reload
	;; [unrolled: 4-line block ×6, first 2 shown]
	s_wait_loadcnt 0x0
	ds_store_b128 v8, v[0:3]
	ds_store_b128 v8, v[4:7] offset:544
	global_wb scope:SCOPE_SE
	s_wait_dscnt 0x0
	s_barrier_signal -1
	s_barrier_wait -1
	global_inv scope:SCOPE_SE
	ds_load_b128 v[12:15], v110
	ds_load_b128 v[8:11], v110 offset:1904
	ds_load_b128 v[64:67], v110 offset:4352
	;; [unrolled: 1-line block ×13, first 2 shown]
	s_and_saveexec_b32 s1, s0
	s_cbranch_execz .LBB0_19
; %bb.18:
	ds_load_b128 v[0:3], v110 offset:3808
	ds_load_b128 v[4:7], v110 offset:8160
	;; [unrolled: 1-line block ×4, first 2 shown]
	s_wait_dscnt 0x0
	scratch_store_b128 off, v[20:23], off offset:12 ; 16-byte Folded Spill
	ds_load_b128 v[20:23], v110 offset:21216
	s_wait_dscnt 0x0
	scratch_store_b128 off, v[20:23], off offset:28 ; 16-byte Folded Spill
	ds_load_b128 v[184:187], v110 offset:25568
	ds_load_b128 v[188:191], v110 offset:29920
.LBB0_19:
	s_wait_alu 0xfffe
	s_or_b32 exec_lo, exec_lo, s1
	s_clause 0x2
	scratch_load_b128 v[114:117], off, off offset:284 th:TH_LOAD_LU
	scratch_load_b128 v[122:125], off, off offset:364 th:TH_LOAD_LU
	;; [unrolled: 1-line block ×3, first 2 shown]
	s_mov_b32 s16, 0x37e14327
	s_mov_b32 s18, 0xe976ee23
	;; [unrolled: 1-line block ×16, first 2 shown]
	s_wait_alu 0xfffe
	s_mov_b32 s22, s20
	s_mov_b32 s26, s24
	s_mov_b32 s28, 0x37c3f68c
	s_mov_b32 s29, 0xbfdc38aa
	s_wait_loadcnt_dscnt 0x20b
	v_mul_f64_e32 v[20:21], v[116:117], v[66:67]
	v_mul_f64_e32 v[22:23], v[116:117], v[64:65]
	scratch_load_b128 v[116:119], off, off offset:332 th:TH_LOAD_LU ; 16-byte Folded Reload
	s_wait_loadcnt_dscnt 0x201
	v_mul_f64_e32 v[44:45], v[124:125], v[82:83]
	v_mul_f64_e32 v[46:47], v[124:125], v[80:81]
	scratch_load_b128 v[124:127], off, off offset:380 th:TH_LOAD_LU ; 16-byte Folded Reload
	v_fma_f64 v[20:21], v[114:115], v[64:65], v[20:21]
	v_fma_f64 v[22:23], v[114:115], v[66:67], -v[22:23]
	v_fma_f64 v[44:45], v[122:123], v[80:81], v[44:45]
	v_fma_f64 v[46:47], v[122:123], v[82:83], -v[46:47]
	scratch_load_b128 v[80:83], off, off offset:444 th:TH_LOAD_LU ; 16-byte Folded Reload
	s_wait_loadcnt 0x2
	v_mul_f64_e32 v[32:33], v[118:119], v[74:75]
	v_mul_f64_e32 v[34:35], v[118:119], v[72:73]
	scratch_load_b128 v[118:121], off, off offset:348 th:TH_LOAD_LU ; 16-byte Folded Reload
	v_mul_f64_e32 v[48:49], v[130:131], v[78:79]
	v_mul_f64_e32 v[50:51], v[130:131], v[76:77]
	scratch_load_b128 v[130:133], off, off offset:412 th:TH_LOAD_LU ; 16-byte Folded Reload
	s_wait_loadcnt 0x3
	v_mul_f64_e32 v[100:101], v[126:127], v[38:39]
	v_mul_f64_e32 v[102:103], v[126:127], v[36:37]
	v_fma_f64 v[32:33], v[116:117], v[72:73], v[32:33]
	v_fma_f64 v[34:35], v[116:117], v[74:75], -v[34:35]
	scratch_load_b128 v[114:117], off, off offset:492 th:TH_LOAD_LU ; 16-byte Folded Reload
	v_fma_f64 v[48:49], v[128:129], v[76:77], v[48:49]
	v_fma_f64 v[50:51], v[128:129], v[78:79], -v[50:51]
	s_wait_loadcnt 0x3
	v_mul_f64_e32 v[64:65], v[82:83], v[18:19]
	v_mul_f64_e32 v[66:67], v[82:83], v[16:17]
	v_fma_f64 v[36:37], v[124:125], v[36:37], v[100:101]
	v_fma_f64 v[38:39], v[124:125], v[38:39], -v[102:103]
	v_add_f64_e32 v[76:77], v[32:33], v[48:49]
	v_add_f64_e32 v[78:79], v[34:35], v[50:51]
	v_add_f64_e64 v[32:33], v[32:33], -v[48:49]
	v_add_f64_e64 v[34:35], v[34:35], -v[50:51]
	v_fma_f64 v[16:17], v[80:81], v[16:17], v[64:65]
	v_fma_f64 v[18:19], v[80:81], v[18:19], -v[66:67]
	s_wait_loadcnt 0x2
	v_mul_f64_e32 v[96:97], v[120:121], v[30:31]
	v_mul_f64_e32 v[98:99], v[120:121], v[28:29]
	s_wait_loadcnt 0x1
	v_mul_f64_e32 v[68:69], v[132:133], v[42:43]
	v_mul_f64_e32 v[70:71], v[132:133], v[40:41]
	scratch_load_b128 v[132:135], off, off offset:428 th:TH_LOAD_LU ; 16-byte Folded Reload
	v_fma_f64 v[28:29], v[118:119], v[28:29], v[96:97]
	v_fma_f64 v[30:31], v[118:119], v[30:31], -v[98:99]
	s_wait_loadcnt 0x1
	v_mul_f64_e32 v[72:73], v[116:117], v[26:27]
	v_mul_f64_e32 v[74:75], v[116:117], v[24:25]
	v_fma_f64 v[40:41], v[130:131], v[40:41], v[68:69]
	v_fma_f64 v[42:43], v[130:131], v[42:43], -v[70:71]
	v_add_f64_e32 v[68:69], v[20:21], v[44:45]
	v_add_f64_e32 v[70:71], v[22:23], v[46:47]
	v_add_f64_e64 v[20:21], v[20:21], -v[44:45]
	v_add_f64_e64 v[22:23], v[22:23], -v[46:47]
	v_add_f64_e32 v[80:81], v[28:29], v[36:37]
	v_add_f64_e32 v[82:83], v[30:31], v[38:39]
	v_add_f64_e64 v[28:29], v[36:37], -v[28:29]
	v_add_f64_e64 v[30:31], v[38:39], -v[30:31]
	v_fma_f64 v[24:25], v[114:115], v[24:25], v[72:73]
	v_fma_f64 v[26:27], v[114:115], v[26:27], -v[74:75]
	v_add_f64_e32 v[36:37], v[76:77], v[68:69]
	v_add_f64_e32 v[38:39], v[78:79], v[70:71]
	s_delay_alu instid0(VALU_DEP_4) | instskip(NEXT) | instid1(VALU_DEP_4)
	v_add_f64_e32 v[48:49], v[16:17], v[24:25]
	v_add_f64_e32 v[50:51], v[18:19], v[26:27]
	v_add_f64_e64 v[16:17], v[24:25], -v[16:17]
	v_add_f64_e64 v[18:19], v[26:27], -v[18:19]
	v_add_f64_e32 v[36:37], v[80:81], v[36:37]
	v_add_f64_e32 v[38:39], v[82:83], v[38:39]
	s_delay_alu instid0(VALU_DEP_2) | instskip(NEXT) | instid1(VALU_DEP_2)
	v_add_f64_e32 v[12:13], v[12:13], v[36:37]
	v_add_f64_e32 v[14:15], v[14:15], v[38:39]
	s_delay_alu instid0(VALU_DEP_2) | instskip(NEXT) | instid1(VALU_DEP_2)
	v_fma_f64 v[36:37], v[36:37], s[14:15], v[12:13]
	v_fma_f64 v[38:39], v[38:39], s[14:15], v[14:15]
	s_wait_loadcnt 0x0
	v_mul_f64_e32 v[84:85], v[134:135], v[54:55]
	v_mul_f64_e32 v[86:87], v[134:135], v[52:53]
	scratch_load_b128 v[134:137], off, off offset:460 th:TH_LOAD_LU ; 16-byte Folded Reload
	v_fma_f64 v[52:53], v[132:133], v[52:53], v[84:85]
	v_fma_f64 v[54:55], v[132:133], v[54:55], -v[86:87]
	v_add_f64_e64 v[84:85], v[32:33], -v[20:21]
	v_add_f64_e64 v[86:87], v[34:35], -v[22:23]
	s_delay_alu instid0(VALU_DEP_2) | instskip(NEXT) | instid1(VALU_DEP_2)
	v_mul_f64_e32 v[96:97], s[2:3], v[84:85]
	v_mul_f64_e32 v[98:99], s[2:3], v[86:87]
	s_wait_loadcnt_dscnt 0x0
	v_mul_f64_e32 v[88:89], v[136:137], v[62:63]
	v_mul_f64_e32 v[90:91], v[136:137], v[60:61]
	scratch_load_b128 v[136:139], off, off offset:476 th:TH_LOAD_LU ; 16-byte Folded Reload
	global_wb scope:SCOPE_SE
	s_wait_loadcnt 0x0
	s_wait_storecnt 0x0
	s_barrier_signal -1
	s_barrier_wait -1
	global_inv scope:SCOPE_SE
	v_fma_f64 v[60:61], v[134:135], v[60:61], v[88:89]
	v_fma_f64 v[62:63], v[134:135], v[62:63], -v[90:91]
	s_delay_alu instid0(VALU_DEP_2) | instskip(NEXT) | instid1(VALU_DEP_2)
	v_add_f64_e32 v[64:65], v[40:41], v[60:61]
	v_add_f64_e32 v[66:67], v[42:43], v[62:63]
	v_add_f64_e64 v[24:25], v[40:41], -v[60:61]
	v_add_f64_e64 v[26:27], v[42:43], -v[62:63]
	v_add_f64_e64 v[60:61], v[28:29], -v[32:33]
	v_add_f64_e64 v[62:63], v[30:31], -v[34:35]
	v_add_f64_e32 v[32:33], v[28:29], v[32:33]
	v_add_f64_e32 v[34:35], v[30:31], v[34:35]
	v_add_f64_e64 v[28:29], v[20:21], -v[28:29]
	v_add_f64_e64 v[30:31], v[22:23], -v[30:31]
	v_mul_f64_e32 v[60:61], s[18:19], v[60:61]
	v_mul_f64_e32 v[62:63], s[18:19], v[62:63]
	v_add_f64_e32 v[20:21], v[32:33], v[20:21]
	v_add_f64_e32 v[22:23], v[34:35], v[22:23]
	v_mul_f64_e32 v[92:93], v[138:139], v[58:59]
	v_mul_f64_e32 v[94:95], v[138:139], v[56:57]
	s_delay_alu instid0(VALU_DEP_2) | instskip(NEXT) | instid1(VALU_DEP_2)
	v_fma_f64 v[56:57], v[136:137], v[56:57], v[92:93]
	v_fma_f64 v[58:59], v[136:137], v[58:59], -v[94:95]
	s_delay_alu instid0(VALU_DEP_2) | instskip(NEXT) | instid1(VALU_DEP_2)
	v_add_f64_e32 v[72:73], v[52:53], v[56:57]
	v_add_f64_e32 v[74:75], v[54:55], v[58:59]
	v_add_f64_e64 v[44:45], v[52:53], -v[56:57]
	v_add_f64_e64 v[46:47], v[54:55], -v[58:59]
	;; [unrolled: 1-line block ×10, first 2 shown]
	v_add_f64_e32 v[40:41], v[72:73], v[64:65]
	v_add_f64_e32 v[42:43], v[74:75], v[66:67]
	v_add_f64_e64 v[88:89], v[16:17], -v[44:45]
	v_add_f64_e64 v[90:91], v[18:19], -v[46:47]
	;; [unrolled: 1-line block ×4, first 2 shown]
	v_mul_f64_e32 v[52:53], s[16:17], v[52:53]
	v_mul_f64_e32 v[54:55], s[16:17], v[54:55]
	v_add_f64_e32 v[44:45], v[16:17], v[44:45]
	v_add_f64_e32 v[46:47], v[18:19], v[46:47]
	v_mul_f64_e32 v[76:77], s[10:11], v[56:57]
	v_mul_f64_e32 v[78:79], s[10:11], v[58:59]
	v_add_f64_e64 v[16:17], v[24:25], -v[16:17]
	v_add_f64_e64 v[18:19], v[26:27], -v[18:19]
	v_mul_f64_e32 v[80:81], s[16:17], v[80:81]
	v_mul_f64_e32 v[82:83], s[16:17], v[82:83]
	v_add_f64_e64 v[64:65], v[72:73], -v[64:65]
	v_add_f64_e64 v[66:67], v[74:75], -v[66:67]
	v_add_f64_e32 v[40:41], v[48:49], v[40:41]
	v_add_f64_e32 v[42:43], v[50:51], v[42:43]
	v_add_f64_e64 v[48:49], v[48:49], -v[72:73]
	v_add_f64_e64 v[50:51], v[50:51], -v[74:75]
	v_mul_f64_e32 v[88:89], s[18:19], v[88:89]
	v_mul_f64_e32 v[90:91], s[18:19], v[90:91]
	;; [unrolled: 1-line block ×4, first 2 shown]
	v_fma_f64 v[32:33], v[56:57], s[10:11], v[52:53]
	v_fma_f64 v[34:35], v[58:59], s[10:11], v[54:55]
	;; [unrolled: 1-line block ×4, first 2 shown]
	s_wait_alu 0xfffe
	v_fma_f64 v[28:29], v[28:29], s[26:27], -v[96:97]
	v_fma_f64 v[30:31], v[30:31], s[26:27], -v[98:99]
	;; [unrolled: 1-line block ×4, first 2 shown]
	v_add_f64_e32 v[24:25], v[44:45], v[24:25]
	v_add_f64_e32 v[26:27], v[46:47], v[26:27]
	v_fma_f64 v[44:45], v[68:69], s[20:21], -v[76:77]
	v_fma_f64 v[46:47], v[70:71], s[20:21], -v[78:79]
	;; [unrolled: 1-line block ×4, first 2 shown]
	v_add_f64_e32 v[8:9], v[8:9], v[40:41]
	v_add_f64_e32 v[10:11], v[10:11], v[42:43]
	v_mul_f64_e32 v[72:73], s[10:11], v[48:49]
	v_mul_f64_e32 v[74:75], s[10:11], v[50:51]
	v_fma_f64 v[48:49], v[48:49], s[10:11], v[80:81]
	v_fma_f64 v[50:51], v[50:51], s[10:11], v[82:83]
	;; [unrolled: 1-line block ×4, first 2 shown]
	v_fma_f64 v[76:77], v[92:93], s[2:3], -v[88:89]
	v_fma_f64 v[78:79], v[94:95], s[2:3], -v[90:91]
	;; [unrolled: 1-line block ×6, first 2 shown]
	v_fma_f64 v[56:57], v[20:21], s[28:29], v[56:57]
	v_fma_f64 v[58:59], v[22:23], s[28:29], v[58:59]
	v_add_f64_e32 v[84:85], v[32:33], v[36:37]
	v_add_f64_e32 v[86:87], v[34:35], v[38:39]
	;; [unrolled: 1-line block ×4, first 2 shown]
	v_fma_f64 v[60:61], v[20:21], s[28:29], v[60:61]
	v_fma_f64 v[62:63], v[22:23], s[28:29], v[62:63]
	;; [unrolled: 1-line block ×4, first 2 shown]
	v_fma_f64 v[64:65], v[64:65], s[20:21], -v[72:73]
	v_fma_f64 v[66:67], v[66:67], s[20:21], -v[74:75]
	v_fma_f64 v[72:73], v[20:21], s[28:29], v[28:29]
	v_fma_f64 v[74:75], v[22:23], s[28:29], v[30:31]
	v_add_f64_e32 v[28:29], v[44:45], v[36:37]
	v_add_f64_e32 v[30:31], v[46:47], v[38:39]
	v_fma_f64 v[68:69], v[24:25], s[28:29], v[68:69]
	v_fma_f64 v[70:71], v[26:27], s[28:29], v[70:71]
	v_fma_f64 v[54:55], v[24:25], s[28:29], v[76:77]
	v_fma_f64 v[52:53], v[26:27], s[28:29], v[78:79]
	v_fma_f64 v[76:77], v[24:25], s[28:29], v[16:17]
	v_fma_f64 v[78:79], v[26:27], s[28:29], v[18:19]
	v_add_f64_e32 v[16:17], v[58:59], v[84:85]
	v_add_f64_e64 v[18:19], v[86:87], -v[56:57]
	v_add_f64_e64 v[36:37], v[84:85], -v[58:59]
	v_add_f64_e32 v[38:39], v[56:57], v[86:87]
	v_add_f64_e32 v[88:89], v[48:49], v[40:41]
	;; [unrolled: 1-line block ×8, first 2 shown]
	v_add_f64_e64 v[22:23], v[34:35], -v[72:73]
	v_add_f64_e64 v[24:25], v[28:29], -v[62:63]
	v_add_f64_e32 v[26:27], v[60:61], v[30:31]
	v_add_f64_e32 v[28:29], v[62:63], v[28:29]
	v_add_f64_e64 v[30:31], v[30:31], -v[60:61]
	v_add_f64_e64 v[32:33], v[32:33], -v[74:75]
	v_add_f64_e32 v[34:35], v[72:73], v[34:35]
	v_add_f64_e32 v[40:41], v[70:71], v[88:89]
	v_add_f64_e64 v[42:43], v[90:91], -v[68:69]
	v_add_f64_e32 v[44:45], v[78:79], v[80:81]
	v_add_f64_e64 v[46:47], v[82:83], -v[76:77]
	v_add_f64_e64 v[48:49], v[64:65], -v[52:53]
	v_add_f64_e32 v[50:51], v[54:55], v[66:67]
	v_add_f64_e32 v[52:53], v[52:53], v[64:65]
	v_add_f64_e64 v[54:55], v[66:67], -v[54:55]
	v_add_f64_e64 v[56:57], v[80:81], -v[78:79]
	v_add_f64_e32 v[58:59], v[76:77], v[82:83]
	v_add_f64_e64 v[60:61], v[88:89], -v[70:71]
	v_add_f64_e32 v[62:63], v[68:69], v[90:91]
	ds_store_b128 v109, v[12:15]
	ds_store_b128 v109, v[16:19] offset:1088
	ds_store_b128 v109, v[20:23] offset:2176
	;; [unrolled: 1-line block ×6, first 2 shown]
	ds_store_b128 v112, v[8:11]
	ds_store_b128 v112, v[40:43] offset:1088
	ds_store_b128 v112, v[44:47] offset:2176
	ds_store_b128 v112, v[48:51] offset:3264
	ds_store_b128 v112, v[52:55] offset:4352
	ds_store_b128 v112, v[56:59] offset:5440
	ds_store_b128 v112, v[60:63] offset:6528
	s_mov_b32 s1, exec_lo
	scratch_load_b32 v96, off, off offset:8 ; 4-byte Folded Reload
	s_wait_alu 0xfffe
	s_and_b32 s0, s1, s0
	s_wait_alu 0xfffe
	s_mov_b32 exec_lo, s0
	s_cbranch_execz .LBB0_21
; %bb.20:
	s_clause 0x4
	scratch_load_b128 v[40:43], off, off offset:596 th:TH_LOAD_LU
	scratch_load_b128 v[36:39], off, off offset:580 th:TH_LOAD_LU
	;; [unrolled: 1-line block ×5, first 2 shown]
	v_mul_f64_e32 v[10:11], v[106:107], v[4:5]
	v_mul_f64_e32 v[16:17], v[106:107], v[6:7]
	s_delay_alu instid0(VALU_DEP_2) | instskip(NEXT) | instid1(VALU_DEP_2)
	v_fma_f64 v[6:7], v[104:105], v[6:7], -v[10:11]
	v_fma_f64 v[4:5], v[104:105], v[4:5], v[16:17]
	s_wait_loadcnt 0x4
	v_mul_f64_e32 v[12:13], v[42:43], v[184:185]
	v_mul_f64_e32 v[22:23], v[42:43], v[186:187]
	s_clause 0x1
	scratch_load_b128 v[42:45], off, off offset:612 th:TH_LOAD_LU
	scratch_load_b128 v[50:53], off, off offset:12 th:TH_LOAD_LU
	s_wait_loadcnt 0x5
	v_mul_f64_e32 v[8:9], v[38:39], v[188:189]
	s_wait_loadcnt 0x4
	v_mul_f64_e32 v[14:15], v[34:35], v[180:181]
	v_mul_f64_e32 v[18:19], v[38:39], v[190:191]
	v_mul_f64_e32 v[20:21], v[34:35], v[182:183]
	s_wait_loadcnt 0x2
	v_mul_f64_e32 v[24:25], v[48:49], v[56:57]
	v_mul_f64_e32 v[30:31], v[48:49], v[54:55]
	v_fma_f64 v[10:11], v[40:41], v[186:187], -v[12:13]
	v_fma_f64 v[8:9], v[36:37], v[190:191], -v[8:9]
	;; [unrolled: 1-line block ×3, first 2 shown]
	v_fma_f64 v[14:15], v[36:37], v[188:189], v[18:19]
	v_fma_f64 v[16:17], v[32:33], v[180:181], v[20:21]
	;; [unrolled: 1-line block ×4, first 2 shown]
	s_delay_alu instid0(VALU_DEP_4) | instskip(SKIP_1) | instid1(VALU_DEP_4)
	v_add_f64_e32 v[32:33], v[4:5], v[14:15]
	v_add_f64_e64 v[4:5], v[4:5], -v[14:15]
	v_add_f64_e32 v[34:35], v[16:17], v[18:19]
	v_add_f64_e64 v[16:17], v[16:17], -v[18:19]
	s_delay_alu instid0(VALU_DEP_1) | instskip(SKIP_3) | instid1(VALU_DEP_2)
	v_add_f64_e64 v[38:39], v[16:17], -v[4:5]
	s_wait_loadcnt 0x0
	v_mul_f64_e32 v[26:27], v[44:45], v[52:53]
	v_mul_f64_e32 v[28:29], v[44:45], v[50:51]
	v_fma_f64 v[22:23], v[42:43], v[50:51], v[26:27]
	s_delay_alu instid0(VALU_DEP_2)
	v_fma_f64 v[24:25], v[42:43], v[52:53], -v[28:29]
	v_fma_f64 v[26:27], v[46:47], v[56:57], -v[30:31]
	v_add_f64_e32 v[28:29], v[6:7], v[8:9]
	v_add_f64_e32 v[30:31], v[12:13], v[10:11]
	v_add_f64_e64 v[10:11], v[12:13], -v[10:11]
	v_add_f64_e64 v[6:7], v[6:7], -v[8:9]
	v_add_f64_e32 v[8:9], v[34:35], v[32:33]
	v_add_f64_e64 v[36:37], v[20:21], -v[22:23]
	v_add_f64_e32 v[20:21], v[22:23], v[20:21]
	v_add_f64_e32 v[18:19], v[24:25], v[26:27]
	v_add_f64_e64 v[22:23], v[26:27], -v[24:25]
	v_add_f64_e32 v[14:15], v[30:31], v[28:29]
	v_add_f64_e64 v[42:43], v[10:11], -v[6:7]
	v_add_f64_e64 v[12:13], v[36:37], -v[16:17]
	;; [unrolled: 1-line block ×5, first 2 shown]
	v_add_f64_e32 v[14:15], v[18:19], v[14:15]
	v_add_f64_e64 v[18:19], v[18:19], -v[30:31]
	v_add_f64_e32 v[8:9], v[20:21], v[8:9]
	v_add_f64_e64 v[20:21], v[20:21], -v[34:35]
	v_add_f64_e64 v[44:45], v[4:5], -v[36:37]
	v_add_f64_e32 v[16:17], v[36:37], v[16:17]
	v_add_f64_e32 v[10:11], v[22:23], v[10:11]
	v_mul_f64_e32 v[36:37], s[2:3], v[38:39]
	v_add_f64_e64 v[22:23], v[6:7], -v[22:23]
	v_add_f64_e64 v[28:29], v[30:31], -v[28:29]
	v_mul_f64_e32 v[46:47], s[2:3], v[42:43]
	v_add_f64_e64 v[32:33], v[34:35], -v[32:33]
	v_mul_f64_e32 v[12:13], s[18:19], v[12:13]
	v_mul_f64_e32 v[26:27], s[16:17], v[26:27]
	;; [unrolled: 1-line block ×4, first 2 shown]
	v_add_f64_e32 v[2:3], v[2:3], v[14:15]
	v_mul_f64_e32 v[30:31], s[10:11], v[18:19]
	v_add_f64_e32 v[0:1], v[0:1], v[8:9]
	v_mul_f64_e32 v[34:35], s[10:11], v[20:21]
	v_add_f64_e32 v[4:5], v[16:17], v[4:5]
	v_add_f64_e32 v[6:7], v[10:11], v[6:7]
	v_fma_f64 v[10:11], v[44:45], s[24:25], v[12:13]
	v_fma_f64 v[12:13], v[38:39], s[2:3], -v[12:13]
	v_fma_f64 v[16:17], v[18:19], s[10:11], v[24:25]
	v_fma_f64 v[18:19], v[20:21], s[10:11], v[26:27]
	v_fma_f64 v[20:21], v[44:45], s[26:27], -v[36:37]
	v_fma_f64 v[14:15], v[14:15], s[14:15], v[2:3]
	v_fma_f64 v[24:25], v[28:29], s[22:23], -v[24:25]
	v_fma_f64 v[28:29], v[28:29], s[20:21], -v[30:31]
	v_fma_f64 v[30:31], v[22:23], s[24:25], v[40:41]
	v_fma_f64 v[8:9], v[8:9], s[14:15], v[0:1]
	v_fma_f64 v[22:23], v[22:23], s[26:27], -v[46:47]
	v_fma_f64 v[26:27], v[32:33], s[22:23], -v[26:27]
	v_fma_f64 v[36:37], v[42:43], s[2:3], -v[40:41]
	v_fma_f64 v[32:33], v[32:33], s[20:21], -v[34:35]
	v_fma_f64 v[34:35], v[4:5], s[28:29], v[10:11]
	v_fma_f64 v[20:21], v[4:5], s[28:29], v[20:21]
	;; [unrolled: 1-line block ×3, first 2 shown]
	v_add_f64_e32 v[12:13], v[16:17], v[14:15]
	v_add_f64_e32 v[16:17], v[24:25], v[14:15]
	;; [unrolled: 1-line block ×3, first 2 shown]
	v_fma_f64 v[28:29], v[6:7], s[28:29], v[30:31]
	v_add_f64_e32 v[38:39], v[18:19], v[8:9]
	v_fma_f64 v[30:31], v[6:7], s[28:29], v[22:23]
	v_add_f64_e32 v[40:41], v[26:27], v[8:9]
	;; [unrolled: 2-line block ×3, first 2 shown]
	v_add_f64_e64 v[26:27], v[12:13], -v[34:35]
	v_add_f64_e32 v[10:11], v[20:21], v[16:17]
	v_add_f64_e64 v[14:15], v[24:25], -v[4:5]
	v_add_f64_e32 v[18:19], v[4:5], v[24:25]
	v_add_f64_e32 v[24:25], v[28:29], v[38:39]
	v_add_f64_e64 v[22:23], v[16:17], -v[20:21]
	v_add_f64_e32 v[20:21], v[30:31], v[40:41]
	;; [unrolled: 3-line block ×3, first 2 shown]
	v_add_f64_e64 v[8:9], v[40:41], -v[30:31]
	v_add_f64_e64 v[4:5], v[38:39], -v[28:29]
	v_lshlrev_b32_e32 v28, 4, v111
	ds_store_b128 v28, v[0:3] offset:22848
	ds_store_b128 v28, v[24:27] offset:23936
	;; [unrolled: 1-line block ×7, first 2 shown]
.LBB0_21:
	s_or_b32 exec_lo, exec_lo, s1
	global_wb scope:SCOPE_SE
	s_wait_loadcnt_dscnt 0x0
	s_barrier_signal -1
	s_barrier_wait -1
	global_inv scope:SCOPE_SE
	ds_load_b128 v[0:3], v110 offset:7616
	ds_load_b128 v[4:7], v110 offset:15232
	;; [unrolled: 1-line block ×12, first 2 shown]
	s_clause 0x1
	scratch_load_b128 v[101:104], off, off offset:524 th:TH_LOAD_LU
	scratch_load_b128 v[97:100], off, off offset:508 th:TH_LOAD_LU
	s_wait_dscnt 0xb
	v_mul_f64_e32 v[48:49], v[150:151], v[2:3]
	v_mul_f64_e32 v[50:51], v[150:151], v[0:1]
	s_wait_dscnt 0xa
	v_mul_f64_e32 v[52:53], v[146:147], v[6:7]
	v_mul_f64_e32 v[54:55], v[146:147], v[4:5]
	;; [unrolled: 3-line block ×10, first 2 shown]
	v_fma_f64 v[48:49], v[148:149], v[0:1], v[48:49]
	v_fma_f64 v[50:51], v[148:149], v[2:3], -v[50:51]
	v_fma_f64 v[52:53], v[144:145], v[4:5], v[52:53]
	v_fma_f64 v[54:55], v[144:145], v[6:7], -v[54:55]
	;; [unrolled: 2-line block ×10, first 2 shown]
	ds_load_b128 v[0:3], v110
	ds_load_b128 v[4:7], v110 offset:1904
	ds_load_b128 v[8:11], v110 offset:3808
	;; [unrolled: 1-line block ×3, first 2 shown]
	s_wait_dscnt 0x3
	v_add_f64_e64 v[52:53], v[0:1], -v[52:53]
	v_add_f64_e64 v[54:55], v[2:3], -v[54:55]
	v_add_f64_e64 v[56:57], v[48:49], -v[56:57]
	v_add_f64_e64 v[58:59], v[50:51], -v[58:59]
	s_wait_dscnt 0x2
	v_add_f64_e64 v[64:65], v[4:5], -v[16:17]
	v_add_f64_e64 v[66:67], v[6:7], -v[18:19]
	v_add_f64_e64 v[16:17], v[60:61], -v[20:21]
	v_add_f64_e64 v[18:19], v[62:63], -v[22:23]
	;; [unrolled: 5-line block ×3, first 2 shown]
	v_fma_f64 v[76:77], v[0:1], 2.0, -v[52:53]
	v_fma_f64 v[78:79], v[2:3], 2.0, -v[54:55]
	v_fma_f64 v[32:33], v[48:49], 2.0, -v[56:57]
	v_fma_f64 v[34:35], v[50:51], 2.0, -v[58:59]
	v_add_f64_e32 v[0:1], v[52:53], v[58:59]
	v_add_f64_e64 v[2:3], v[54:55], -v[56:57]
	v_fma_f64 v[80:81], v[4:5], 2.0, -v[64:65]
	v_fma_f64 v[82:83], v[6:7], 2.0, -v[66:67]
	v_add_f64_e64 v[6:7], v[66:67], -v[16:17]
	v_add_f64_e32 v[4:5], v[64:65], v[18:19]
	v_fma_f64 v[24:25], v[24:25], 2.0, -v[20:21]
	v_fma_f64 v[26:27], v[26:27], 2.0, -v[22:23]
	s_wait_loadcnt 0x1
	v_mul_f64_e32 v[88:89], v[103:104], v[42:43]
	v_mul_f64_e32 v[90:91], v[103:104], v[40:41]
	s_wait_loadcnt 0x0
	v_mul_f64_e32 v[92:93], v[99:100], v[46:47]
	v_mul_f64_e32 v[94:95], v[99:100], v[44:45]
	s_delay_alu instid0(VALU_DEP_4) | instskip(NEXT) | instid1(VALU_DEP_4)
	v_fma_f64 v[40:41], v[101:102], v[40:41], v[88:89]
	v_fma_f64 v[42:43], v[101:102], v[42:43], -v[90:91]
	s_delay_alu instid0(VALU_DEP_4) | instskip(NEXT) | instid1(VALU_DEP_4)
	v_fma_f64 v[44:45], v[97:98], v[44:45], v[92:93]
	v_fma_f64 v[46:47], v[97:98], v[46:47], -v[94:95]
	s_wait_dscnt 0x0
	s_delay_alu instid0(VALU_DEP_4) | instskip(NEXT) | instid1(VALU_DEP_4)
	v_add_f64_e64 v[72:73], v[12:13], -v[40:41]
	v_add_f64_e64 v[74:75], v[14:15], -v[42:43]
	s_delay_alu instid0(VALU_DEP_4) | instskip(NEXT) | instid1(VALU_DEP_4)
	v_add_f64_e64 v[28:29], v[36:37], -v[44:45]
	v_add_f64_e64 v[30:31], v[38:39], -v[46:47]
	v_fma_f64 v[40:41], v[60:61], 2.0, -v[16:17]
	v_fma_f64 v[42:43], v[62:63], 2.0, -v[18:19]
	;; [unrolled: 1-line block ×4, first 2 shown]
	v_add_f64_e32 v[8:9], v[68:69], v[22:23]
	v_add_f64_e64 v[10:11], v[70:71], -v[20:21]
	v_add_f64_e64 v[16:17], v[76:77], -v[32:33]
	;; [unrolled: 1-line block ×3, first 2 shown]
	v_fma_f64 v[32:33], v[52:53], 2.0, -v[0:1]
	v_fma_f64 v[34:35], v[54:55], 2.0, -v[2:3]
	;; [unrolled: 1-line block ×6, first 2 shown]
	v_add_f64_e32 v[12:13], v[72:73], v[30:31]
	v_add_f64_e64 v[14:15], v[74:75], -v[28:29]
	v_add_f64_e64 v[20:21], v[80:81], -v[40:41]
	;; [unrolled: 1-line block ×5, first 2 shown]
	v_fma_f64 v[40:41], v[68:69], 2.0, -v[8:9]
	v_fma_f64 v[42:43], v[70:71], 2.0, -v[10:11]
	;; [unrolled: 1-line block ×4, first 2 shown]
	v_add_f64_e64 v[28:29], v[84:85], -v[36:37]
	v_add_f64_e64 v[30:31], v[86:87], -v[38:39]
	v_fma_f64 v[36:37], v[64:65], 2.0, -v[4:5]
	v_fma_f64 v[38:39], v[66:67], 2.0, -v[6:7]
	;; [unrolled: 1-line block ×10, first 2 shown]
	ds_store_b128 v110, v[0:3] offset:22848
	ds_store_b128 v110, v[4:7] offset:24752
	;; [unrolled: 1-line block ×12, first 2 shown]
	ds_store_b128 v110, v[48:51]
	ds_store_b128 v110, v[52:55] offset:1904
	ds_store_b128 v110, v[56:59] offset:3808
	;; [unrolled: 1-line block ×3, first 2 shown]
	global_wb scope:SCOPE_SE
	s_wait_dscnt 0x0
	s_barrier_signal -1
	s_barrier_wait -1
	global_inv scope:SCOPE_SE
	s_and_b32 exec_lo, exec_lo, vcc_lo
	s_cbranch_execz .LBB0_23
; %bb.22:
	global_load_b128 v[0:3], v108, s[8:9]
	ds_load_b128 v[4:7], v110
	ds_load_b128 v[8:11], v108 offset:1792
	ds_load_b128 v[12:15], v108 offset:28672
	s_mov_b32 s0, 0x1135c811
	s_mov_b32 s1, 0x3f4135c8
	s_mul_u64 s[2:3], s[4:5], 0x700
	s_wait_loadcnt_dscnt 0x2
	v_mul_f64_e32 v[16:17], v[6:7], v[2:3]
	v_mul_f64_e32 v[2:3], v[4:5], v[2:3]
	s_delay_alu instid0(VALU_DEP_2) | instskip(NEXT) | instid1(VALU_DEP_2)
	v_fma_f64 v[4:5], v[4:5], v[0:1], v[16:17]
	v_fma_f64 v[2:3], v[0:1], v[6:7], -v[2:3]
	scratch_load_b64 v[0:1], off, off th:TH_LOAD_LU ; 8-byte Folded Reload
	v_mad_co_u64_u32 v[16:17], null, s4, v96, 0
	s_wait_alu 0xfffe
	v_mul_f64_e32 v[2:3], s[0:1], v[2:3]
	s_wait_loadcnt 0x0
	v_mov_b32_e32 v18, v0
	v_mul_f64_e32 v[0:1], s[0:1], v[4:5]
	s_delay_alu instid0(VALU_DEP_4) | instskip(NEXT) | instid1(VALU_DEP_3)
	v_mov_b32_e32 v5, v17
	v_mad_co_u64_u32 v[6:7], null, s6, v18, 0
	s_delay_alu instid0(VALU_DEP_1) | instskip(NEXT) | instid1(VALU_DEP_1)
	v_mov_b32_e32 v4, v7
	v_mad_co_u64_u32 v[17:18], null, s7, v18, v[4:5]
	s_delay_alu instid0(VALU_DEP_3) | instskip(NEXT) | instid1(VALU_DEP_2)
	v_mad_co_u64_u32 v[4:5], null, s5, v96, v[5:6]
	v_mov_b32_e32 v7, v17
	s_delay_alu instid0(VALU_DEP_2) | instskip(NEXT) | instid1(VALU_DEP_2)
	v_mov_b32_e32 v17, v4
	v_lshlrev_b64_e32 v[4:5], 4, v[6:7]
	s_delay_alu instid0(VALU_DEP_2) | instskip(NEXT) | instid1(VALU_DEP_2)
	v_lshlrev_b64_e32 v[6:7], 4, v[16:17]
	v_add_co_u32 v20, vcc_lo, s12, v4
	s_delay_alu instid0(VALU_DEP_3) | instskip(NEXT) | instid1(VALU_DEP_2)
	v_add_co_ci_u32_e32 v21, vcc_lo, s13, v5, vcc_lo
	v_add_co_u32 v4, vcc_lo, v20, v6
	s_wait_alu 0xfffd
	s_delay_alu instid0(VALU_DEP_2) | instskip(NEXT) | instid1(VALU_DEP_2)
	v_add_co_ci_u32_e32 v5, vcc_lo, v21, v7, vcc_lo
	v_add_co_u32 v16, vcc_lo, v4, s2
	global_store_b128 v[4:5], v[0:3], off
	global_load_b128 v[0:3], v108, s[8:9] offset:1792
	s_wait_alu 0xfffd
	v_add_co_ci_u32_e32 v17, vcc_lo, s3, v5, vcc_lo
	s_wait_loadcnt_dscnt 0x1
	v_mul_f64_e32 v[6:7], v[10:11], v[2:3]
	v_mul_f64_e32 v[2:3], v[8:9], v[2:3]
	s_delay_alu instid0(VALU_DEP_2) | instskip(NEXT) | instid1(VALU_DEP_2)
	v_fma_f64 v[6:7], v[8:9], v[0:1], v[6:7]
	v_fma_f64 v[2:3], v[0:1], v[10:11], -v[2:3]
	s_delay_alu instid0(VALU_DEP_2) | instskip(NEXT) | instid1(VALU_DEP_2)
	v_mul_f64_e32 v[0:1], s[0:1], v[6:7]
	v_mul_f64_e32 v[2:3], s[0:1], v[2:3]
	global_store_b128 v[16:17], v[0:3], off
	global_load_b128 v[0:3], v108, s[8:9] offset:3584
	ds_load_b128 v[4:7], v108 offset:3584
	ds_load_b128 v[8:11], v108 offset:5376
	s_wait_loadcnt_dscnt 0x1
	v_mul_f64_e32 v[18:19], v[6:7], v[2:3]
	v_mul_f64_e32 v[2:3], v[4:5], v[2:3]
	s_delay_alu instid0(VALU_DEP_2) | instskip(NEXT) | instid1(VALU_DEP_2)
	v_fma_f64 v[4:5], v[4:5], v[0:1], v[18:19]
	v_fma_f64 v[2:3], v[0:1], v[6:7], -v[2:3]
	s_delay_alu instid0(VALU_DEP_2) | instskip(NEXT) | instid1(VALU_DEP_2)
	v_mul_f64_e32 v[0:1], s[0:1], v[4:5]
	v_mul_f64_e32 v[2:3], s[0:1], v[2:3]
	v_add_co_u32 v4, vcc_lo, v16, s2
	s_wait_alu 0xfffd
	v_add_co_ci_u32_e32 v5, vcc_lo, s3, v17, vcc_lo
	s_delay_alu instid0(VALU_DEP_2) | instskip(SKIP_1) | instid1(VALU_DEP_2)
	v_add_co_u32 v16, vcc_lo, v4, s2
	s_wait_alu 0xfffd
	v_add_co_ci_u32_e32 v17, vcc_lo, s3, v5, vcc_lo
	global_store_b128 v[4:5], v[0:3], off
	global_load_b128 v[0:3], v108, s[8:9] offset:5376
	s_wait_loadcnt_dscnt 0x0
	v_mul_f64_e32 v[6:7], v[10:11], v[2:3]
	v_mul_f64_e32 v[2:3], v[8:9], v[2:3]
	s_delay_alu instid0(VALU_DEP_2) | instskip(NEXT) | instid1(VALU_DEP_2)
	v_fma_f64 v[6:7], v[8:9], v[0:1], v[6:7]
	v_fma_f64 v[2:3], v[0:1], v[10:11], -v[2:3]
	s_delay_alu instid0(VALU_DEP_2) | instskip(NEXT) | instid1(VALU_DEP_2)
	v_mul_f64_e32 v[0:1], s[0:1], v[6:7]
	v_mul_f64_e32 v[2:3], s[0:1], v[2:3]
	global_store_b128 v[16:17], v[0:3], off
	global_load_b128 v[0:3], v108, s[8:9] offset:7168
	ds_load_b128 v[4:7], v108 offset:7168
	ds_load_b128 v[8:11], v108 offset:8960
	s_wait_loadcnt_dscnt 0x1
	v_mul_f64_e32 v[18:19], v[6:7], v[2:3]
	v_mul_f64_e32 v[2:3], v[4:5], v[2:3]
	s_delay_alu instid0(VALU_DEP_2) | instskip(NEXT) | instid1(VALU_DEP_2)
	v_fma_f64 v[4:5], v[4:5], v[0:1], v[18:19]
	v_fma_f64 v[2:3], v[0:1], v[6:7], -v[2:3]
	s_delay_alu instid0(VALU_DEP_2) | instskip(NEXT) | instid1(VALU_DEP_2)
	v_mul_f64_e32 v[0:1], s[0:1], v[4:5]
	v_mul_f64_e32 v[2:3], s[0:1], v[2:3]
	v_add_co_u32 v4, vcc_lo, v16, s2
	s_wait_alu 0xfffd
	v_add_co_ci_u32_e32 v5, vcc_lo, s3, v17, vcc_lo
	s_delay_alu instid0(VALU_DEP_2) | instskip(SKIP_1) | instid1(VALU_DEP_2)
	v_add_co_u32 v16, vcc_lo, v4, s2
	s_wait_alu 0xfffd
	v_add_co_ci_u32_e32 v17, vcc_lo, s3, v5, vcc_lo
	global_store_b128 v[4:5], v[0:3], off
	global_load_b128 v[0:3], v108, s[8:9] offset:8960
	;; [unrolled: 31-line block ×3, first 2 shown]
	s_wait_loadcnt_dscnt 0x0
	v_mul_f64_e32 v[6:7], v[10:11], v[2:3]
	v_mul_f64_e32 v[2:3], v[8:9], v[2:3]
	s_delay_alu instid0(VALU_DEP_2) | instskip(NEXT) | instid1(VALU_DEP_2)
	v_fma_f64 v[6:7], v[8:9], v[0:1], v[6:7]
	v_fma_f64 v[2:3], v[0:1], v[10:11], -v[2:3]
	s_delay_alu instid0(VALU_DEP_2) | instskip(NEXT) | instid1(VALU_DEP_2)
	v_mul_f64_e32 v[0:1], s[0:1], v[6:7]
	v_mul_f64_e32 v[2:3], s[0:1], v[2:3]
	global_store_b128 v[16:17], v[0:3], off
	global_load_b128 v[0:3], v108, s[8:9] offset:14336
	ds_load_b128 v[4:7], v108 offset:14336
	ds_load_b128 v[8:11], v108 offset:16128
	v_mad_co_u64_u32 v[16:17], null, 0xe00, s4, v[16:17]
	s_wait_loadcnt_dscnt 0x1
	v_mul_f64_e32 v[18:19], v[6:7], v[2:3]
	v_mul_f64_e32 v[2:3], v[4:5], v[2:3]
	s_delay_alu instid0(VALU_DEP_2) | instskip(SKIP_3) | instid1(VALU_DEP_2)
	v_fma_f64 v[4:5], v[4:5], v[0:1], v[18:19]
	scratch_load_b32 v18, off, off offset:560 th:TH_LOAD_LU ; 4-byte Folded Reload
	v_fma_f64 v[2:3], v[0:1], v[6:7], -v[2:3]
	v_mul_f64_e32 v[0:1], s[0:1], v[4:5]
	v_mul_f64_e32 v[2:3], s[0:1], v[2:3]
	s_wait_loadcnt 0x0
	v_mad_co_u64_u32 v[6:7], null, s4, v18, 0
	s_delay_alu instid0(VALU_DEP_1) | instskip(NEXT) | instid1(VALU_DEP_1)
	v_mov_b32_e32 v4, v7
	v_mad_co_u64_u32 v[4:5], null, s5, v18, v[4:5]
	s_delay_alu instid0(VALU_DEP_1) | instskip(NEXT) | instid1(VALU_DEP_1)
	v_mov_b32_e32 v7, v4
	v_lshlrev_b64_e32 v[4:5], 4, v[6:7]
	s_delay_alu instid0(VALU_DEP_1) | instskip(SKIP_1) | instid1(VALU_DEP_2)
	v_add_co_u32 v4, vcc_lo, v20, v4
	s_wait_alu 0xfffd
	v_add_co_ci_u32_e32 v5, vcc_lo, v21, v5, vcc_lo
	global_store_b128 v[4:5], v[0:3], off
	global_load_b128 v[0:3], v108, s[8:9] offset:16128
	s_wait_loadcnt_dscnt 0x0
	v_mul_f64_e32 v[4:5], v[10:11], v[2:3]
	v_mul_f64_e32 v[2:3], v[8:9], v[2:3]
	s_delay_alu instid0(VALU_DEP_2) | instskip(NEXT) | instid1(VALU_DEP_2)
	v_fma_f64 v[4:5], v[8:9], v[0:1], v[4:5]
	v_fma_f64 v[2:3], v[0:1], v[10:11], -v[2:3]
	s_delay_alu instid0(VALU_DEP_2) | instskip(SKIP_1) | instid1(VALU_DEP_3)
	v_mul_f64_e32 v[0:1], s[0:1], v[4:5]
	v_mov_b32_e32 v4, v17
	v_mul_f64_e32 v[2:3], s[0:1], v[2:3]
	s_delay_alu instid0(VALU_DEP_2) | instskip(NEXT) | instid1(VALU_DEP_1)
	v_mad_co_u64_u32 v[4:5], null, 0xe00, s5, v[4:5]
	v_mov_b32_e32 v17, v4
	global_store_b128 v[16:17], v[0:3], off
	global_load_b128 v[0:3], v108, s[8:9] offset:17920
	ds_load_b128 v[4:7], v108 offset:17920
	ds_load_b128 v[8:11], v108 offset:19712
	s_wait_loadcnt_dscnt 0x1
	v_mul_f64_e32 v[18:19], v[6:7], v[2:3]
	v_mul_f64_e32 v[2:3], v[4:5], v[2:3]
	s_delay_alu instid0(VALU_DEP_2) | instskip(NEXT) | instid1(VALU_DEP_2)
	v_fma_f64 v[4:5], v[4:5], v[0:1], v[18:19]
	v_fma_f64 v[2:3], v[0:1], v[6:7], -v[2:3]
	s_delay_alu instid0(VALU_DEP_2) | instskip(NEXT) | instid1(VALU_DEP_2)
	v_mul_f64_e32 v[0:1], s[0:1], v[4:5]
	v_mul_f64_e32 v[2:3], s[0:1], v[2:3]
	v_add_co_u32 v4, vcc_lo, v16, s2
	s_wait_alu 0xfffd
	v_add_co_ci_u32_e32 v5, vcc_lo, s3, v17, vcc_lo
	s_delay_alu instid0(VALU_DEP_2) | instskip(SKIP_1) | instid1(VALU_DEP_2)
	v_add_co_u32 v16, vcc_lo, v4, s2
	s_wait_alu 0xfffd
	v_add_co_ci_u32_e32 v17, vcc_lo, s3, v5, vcc_lo
	global_store_b128 v[4:5], v[0:3], off
	global_load_b128 v[0:3], v108, s[8:9] offset:19712
	s_wait_loadcnt_dscnt 0x0
	v_mul_f64_e32 v[6:7], v[10:11], v[2:3]
	v_mul_f64_e32 v[2:3], v[8:9], v[2:3]
	s_delay_alu instid0(VALU_DEP_2) | instskip(NEXT) | instid1(VALU_DEP_2)
	v_fma_f64 v[6:7], v[8:9], v[0:1], v[6:7]
	v_fma_f64 v[2:3], v[0:1], v[10:11], -v[2:3]
	s_delay_alu instid0(VALU_DEP_2) | instskip(NEXT) | instid1(VALU_DEP_2)
	v_mul_f64_e32 v[0:1], s[0:1], v[6:7]
	v_mul_f64_e32 v[2:3], s[0:1], v[2:3]
	global_store_b128 v[16:17], v[0:3], off
	global_load_b128 v[0:3], v108, s[8:9] offset:21504
	ds_load_b128 v[4:7], v108 offset:21504
	ds_load_b128 v[8:11], v108 offset:23296
	s_wait_loadcnt_dscnt 0x1
	v_mul_f64_e32 v[18:19], v[6:7], v[2:3]
	v_mul_f64_e32 v[2:3], v[4:5], v[2:3]
	s_delay_alu instid0(VALU_DEP_2) | instskip(NEXT) | instid1(VALU_DEP_2)
	v_fma_f64 v[4:5], v[4:5], v[0:1], v[18:19]
	v_fma_f64 v[2:3], v[0:1], v[6:7], -v[2:3]
	s_delay_alu instid0(VALU_DEP_2) | instskip(NEXT) | instid1(VALU_DEP_2)
	v_mul_f64_e32 v[0:1], s[0:1], v[4:5]
	v_mul_f64_e32 v[2:3], s[0:1], v[2:3]
	v_add_co_u32 v4, vcc_lo, v16, s2
	s_wait_alu 0xfffd
	v_add_co_ci_u32_e32 v5, vcc_lo, s3, v17, vcc_lo
	s_delay_alu instid0(VALU_DEP_2) | instskip(SKIP_1) | instid1(VALU_DEP_2)
	v_add_co_u32 v16, vcc_lo, v4, s2
	s_wait_alu 0xfffd
	v_add_co_ci_u32_e32 v17, vcc_lo, s3, v5, vcc_lo
	global_store_b128 v[4:5], v[0:3], off
	global_load_b128 v[0:3], v108, s[8:9] offset:23296
	s_wait_loadcnt_dscnt 0x0
	v_mul_f64_e32 v[6:7], v[10:11], v[2:3]
	v_mul_f64_e32 v[2:3], v[8:9], v[2:3]
	s_delay_alu instid0(VALU_DEP_2) | instskip(NEXT) | instid1(VALU_DEP_2)
	v_fma_f64 v[6:7], v[8:9], v[0:1], v[6:7]
	v_fma_f64 v[2:3], v[0:1], v[10:11], -v[2:3]
	s_delay_alu instid0(VALU_DEP_2) | instskip(NEXT) | instid1(VALU_DEP_2)
	v_mul_f64_e32 v[0:1], s[0:1], v[6:7]
	v_mul_f64_e32 v[2:3], s[0:1], v[2:3]
	global_store_b128 v[16:17], v[0:3], off
	global_load_b128 v[0:3], v108, s[8:9] offset:25088
	ds_load_b128 v[4:7], v108 offset:25088
	ds_load_b128 v[8:11], v108 offset:26880
	s_wait_loadcnt_dscnt 0x1
	v_mul_f64_e32 v[18:19], v[6:7], v[2:3]
	v_mul_f64_e32 v[2:3], v[4:5], v[2:3]
	s_delay_alu instid0(VALU_DEP_2) | instskip(NEXT) | instid1(VALU_DEP_2)
	v_fma_f64 v[4:5], v[4:5], v[0:1], v[18:19]
	v_fma_f64 v[2:3], v[0:1], v[6:7], -v[2:3]
	s_delay_alu instid0(VALU_DEP_2) | instskip(NEXT) | instid1(VALU_DEP_2)
	v_mul_f64_e32 v[0:1], s[0:1], v[4:5]
	v_mul_f64_e32 v[2:3], s[0:1], v[2:3]
	v_add_co_u32 v4, vcc_lo, v16, s2
	s_wait_alu 0xfffd
	v_add_co_ci_u32_e32 v5, vcc_lo, s3, v17, vcc_lo
	global_store_b128 v[4:5], v[0:3], off
	global_load_b128 v[0:3], v108, s[8:9] offset:26880
	v_add_co_u32 v4, vcc_lo, v4, s2
	s_wait_alu 0xfffd
	v_add_co_ci_u32_e32 v5, vcc_lo, s3, v5, vcc_lo
	s_wait_loadcnt_dscnt 0x0
	v_mul_f64_e32 v[6:7], v[10:11], v[2:3]
	v_mul_f64_e32 v[2:3], v[8:9], v[2:3]
	s_delay_alu instid0(VALU_DEP_2) | instskip(NEXT) | instid1(VALU_DEP_2)
	v_fma_f64 v[6:7], v[8:9], v[0:1], v[6:7]
	v_fma_f64 v[2:3], v[0:1], v[10:11], -v[2:3]
	scratch_load_b32 v8, off, off offset:556 th:TH_LOAD_LU ; 4-byte Folded Reload
	v_mul_f64_e32 v[0:1], s[0:1], v[6:7]
	v_mul_f64_e32 v[2:3], s[0:1], v[2:3]
	global_store_b128 v[4:5], v[0:3], off
	global_load_b128 v[0:3], v108, s[8:9] offset:28672
	s_wait_loadcnt 0x1
	v_mad_co_u64_u32 v[6:7], null, s4, v8, 0
	s_wait_loadcnt 0x0
	v_mul_f64_e32 v[4:5], v[14:15], v[2:3]
	v_mul_f64_e32 v[2:3], v[12:13], v[2:3]
	s_delay_alu instid0(VALU_DEP_2) | instskip(NEXT) | instid1(VALU_DEP_2)
	v_fma_f64 v[4:5], v[12:13], v[0:1], v[4:5]
	v_fma_f64 v[2:3], v[0:1], v[14:15], -v[2:3]
	s_delay_alu instid0(VALU_DEP_2) | instskip(SKIP_1) | instid1(VALU_DEP_3)
	v_mul_f64_e32 v[0:1], s[0:1], v[4:5]
	v_mov_b32_e32 v4, v7
	v_mul_f64_e32 v[2:3], s[0:1], v[2:3]
	s_delay_alu instid0(VALU_DEP_2) | instskip(NEXT) | instid1(VALU_DEP_1)
	v_mad_co_u64_u32 v[4:5], null, s5, v8, v[4:5]
	v_mov_b32_e32 v7, v4
	s_delay_alu instid0(VALU_DEP_1) | instskip(NEXT) | instid1(VALU_DEP_1)
	v_lshlrev_b64_e32 v[4:5], 4, v[6:7]
	v_add_co_u32 v4, vcc_lo, v20, v4
	s_wait_alu 0xfffd
	s_delay_alu instid0(VALU_DEP_2)
	v_add_co_ci_u32_e32 v5, vcc_lo, v21, v5, vcc_lo
	global_store_b128 v[4:5], v[0:3], off
.LBB0_23:
	s_endpgm
	.section	.rodata,"a",@progbits
	.p2align	6, 0x0
	.amdhsa_kernel bluestein_single_fwd_len1904_dim1_dp_op_CI_CI
		.amdhsa_group_segment_fixed_size 30464
		.amdhsa_private_segment_fixed_size 860
		.amdhsa_kernarg_size 104
		.amdhsa_user_sgpr_count 2
		.amdhsa_user_sgpr_dispatch_ptr 0
		.amdhsa_user_sgpr_queue_ptr 0
		.amdhsa_user_sgpr_kernarg_segment_ptr 1
		.amdhsa_user_sgpr_dispatch_id 0
		.amdhsa_user_sgpr_private_segment_size 0
		.amdhsa_wavefront_size32 1
		.amdhsa_uses_dynamic_stack 0
		.amdhsa_enable_private_segment 1
		.amdhsa_system_sgpr_workgroup_id_x 1
		.amdhsa_system_sgpr_workgroup_id_y 0
		.amdhsa_system_sgpr_workgroup_id_z 0
		.amdhsa_system_sgpr_workgroup_info 0
		.amdhsa_system_vgpr_workitem_id 0
		.amdhsa_next_free_vgpr 256
		.amdhsa_next_free_sgpr 58
		.amdhsa_reserve_vcc 1
		.amdhsa_float_round_mode_32 0
		.amdhsa_float_round_mode_16_64 0
		.amdhsa_float_denorm_mode_32 3
		.amdhsa_float_denorm_mode_16_64 3
		.amdhsa_fp16_overflow 0
		.amdhsa_workgroup_processor_mode 1
		.amdhsa_memory_ordered 1
		.amdhsa_forward_progress 0
		.amdhsa_round_robin_scheduling 0
		.amdhsa_exception_fp_ieee_invalid_op 0
		.amdhsa_exception_fp_denorm_src 0
		.amdhsa_exception_fp_ieee_div_zero 0
		.amdhsa_exception_fp_ieee_overflow 0
		.amdhsa_exception_fp_ieee_underflow 0
		.amdhsa_exception_fp_ieee_inexact 0
		.amdhsa_exception_int_div_zero 0
	.end_amdhsa_kernel
	.text
.Lfunc_end0:
	.size	bluestein_single_fwd_len1904_dim1_dp_op_CI_CI, .Lfunc_end0-bluestein_single_fwd_len1904_dim1_dp_op_CI_CI
                                        ; -- End function
	.section	.AMDGPU.csdata,"",@progbits
; Kernel info:
; codeLenInByte = 30788
; NumSgprs: 60
; NumVgprs: 256
; ScratchSize: 860
; MemoryBound: 0
; FloatMode: 240
; IeeeMode: 1
; LDSByteSize: 30464 bytes/workgroup (compile time only)
; SGPRBlocks: 7
; VGPRBlocks: 31
; NumSGPRsForWavesPerEU: 60
; NumVGPRsForWavesPerEU: 256
; Occupancy: 4
; WaveLimiterHint : 1
; COMPUTE_PGM_RSRC2:SCRATCH_EN: 1
; COMPUTE_PGM_RSRC2:USER_SGPR: 2
; COMPUTE_PGM_RSRC2:TRAP_HANDLER: 0
; COMPUTE_PGM_RSRC2:TGID_X_EN: 1
; COMPUTE_PGM_RSRC2:TGID_Y_EN: 0
; COMPUTE_PGM_RSRC2:TGID_Z_EN: 0
; COMPUTE_PGM_RSRC2:TIDIG_COMP_CNT: 0
	.text
	.p2alignl 7, 3214868480
	.fill 96, 4, 3214868480
	.type	__hip_cuid_d5024ef738a13c37,@object ; @__hip_cuid_d5024ef738a13c37
	.section	.bss,"aw",@nobits
	.globl	__hip_cuid_d5024ef738a13c37
__hip_cuid_d5024ef738a13c37:
	.byte	0                               ; 0x0
	.size	__hip_cuid_d5024ef738a13c37, 1

	.ident	"AMD clang version 19.0.0git (https://github.com/RadeonOpenCompute/llvm-project roc-6.4.0 25133 c7fe45cf4b819c5991fe208aaa96edf142730f1d)"
	.section	".note.GNU-stack","",@progbits
	.addrsig
	.addrsig_sym __hip_cuid_d5024ef738a13c37
	.amdgpu_metadata
---
amdhsa.kernels:
  - .args:
      - .actual_access:  read_only
        .address_space:  global
        .offset:         0
        .size:           8
        .value_kind:     global_buffer
      - .actual_access:  read_only
        .address_space:  global
        .offset:         8
        .size:           8
        .value_kind:     global_buffer
      - .actual_access:  read_only
        .address_space:  global
        .offset:         16
        .size:           8
        .value_kind:     global_buffer
      - .actual_access:  read_only
        .address_space:  global
        .offset:         24
        .size:           8
        .value_kind:     global_buffer
      - .actual_access:  read_only
        .address_space:  global
        .offset:         32
        .size:           8
        .value_kind:     global_buffer
      - .offset:         40
        .size:           8
        .value_kind:     by_value
      - .address_space:  global
        .offset:         48
        .size:           8
        .value_kind:     global_buffer
      - .address_space:  global
        .offset:         56
        .size:           8
        .value_kind:     global_buffer
      - .address_space:  global
        .offset:         64
        .size:           8
        .value_kind:     global_buffer
      - .address_space:  global
        .offset:         72
        .size:           8
        .value_kind:     global_buffer
      - .offset:         80
        .size:           4
        .value_kind:     by_value
      - .address_space:  global
        .offset:         88
        .size:           8
        .value_kind:     global_buffer
      - .address_space:  global
        .offset:         96
        .size:           8
        .value_kind:     global_buffer
    .group_segment_fixed_size: 30464
    .kernarg_segment_align: 8
    .kernarg_segment_size: 104
    .language:       OpenCL C
    .language_version:
      - 2
      - 0
    .max_flat_workgroup_size: 119
    .name:           bluestein_single_fwd_len1904_dim1_dp_op_CI_CI
    .private_segment_fixed_size: 860
    .sgpr_count:     60
    .sgpr_spill_count: 0
    .symbol:         bluestein_single_fwd_len1904_dim1_dp_op_CI_CI.kd
    .uniform_work_group_size: 1
    .uses_dynamic_stack: false
    .vgpr_count:     256
    .vgpr_spill_count: 222
    .wavefront_size: 32
    .workgroup_processor_mode: 1
amdhsa.target:   amdgcn-amd-amdhsa--gfx1201
amdhsa.version:
  - 1
  - 2
...

	.end_amdgpu_metadata
